;; amdgpu-corpus repo=ROCm/rocFFT kind=compiled arch=gfx950 opt=O3
	.text
	.amdgcn_target "amdgcn-amd-amdhsa--gfx950"
	.amdhsa_code_object_version 6
	.protected	fft_rtc_fwd_len850_factors_10_5_17_wgs_85_tpt_85_sp_ip_CI_sbrr_dirReg ; -- Begin function fft_rtc_fwd_len850_factors_10_5_17_wgs_85_tpt_85_sp_ip_CI_sbrr_dirReg
	.globl	fft_rtc_fwd_len850_factors_10_5_17_wgs_85_tpt_85_sp_ip_CI_sbrr_dirReg
	.p2align	8
	.type	fft_rtc_fwd_len850_factors_10_5_17_wgs_85_tpt_85_sp_ip_CI_sbrr_dirReg,@function
fft_rtc_fwd_len850_factors_10_5_17_wgs_85_tpt_85_sp_ip_CI_sbrr_dirReg: ; @fft_rtc_fwd_len850_factors_10_5_17_wgs_85_tpt_85_sp_ip_CI_sbrr_dirReg
; %bb.0:
	s_load_dwordx2 s[12:13], s[0:1], 0x18
	s_load_dwordx4 s[4:7], s[0:1], 0x0
	s_load_dwordx2 s[10:11], s[0:1], 0x50
	v_mul_u32_u24_e32 v1, 0x304, v0
	v_add_u32_sdwa v6, s2, v1 dst_sel:DWORD dst_unused:UNUSED_PAD src0_sel:DWORD src1_sel:WORD_1
	s_waitcnt lgkmcnt(0)
	s_load_dwordx2 s[8:9], s[12:13], 0x0
	v_mov_b32_e32 v4, 0
	v_cmp_lt_u64_e64 s[2:3], s[6:7], 2
	v_mov_b32_e32 v7, v4
	s_and_b64 vcc, exec, s[2:3]
	v_mov_b64_e32 v[2:3], 0
	s_cbranch_vccnz .LBB0_8
; %bb.1:
	s_load_dwordx2 s[2:3], s[0:1], 0x10
	s_add_u32 s14, s12, 8
	s_addc_u32 s15, s13, 0
	s_mov_b64 s[16:17], 1
	v_mov_b64_e32 v[2:3], 0
	s_waitcnt lgkmcnt(0)
	s_add_u32 s18, s2, 8
	s_addc_u32 s19, s3, 0
.LBB0_2:                                ; =>This Inner Loop Header: Depth=1
	s_load_dwordx2 s[20:21], s[18:19], 0x0
                                        ; implicit-def: $vgpr8_vgpr9
	s_waitcnt lgkmcnt(0)
	v_or_b32_e32 v5, s21, v7
	v_cmp_ne_u64_e32 vcc, 0, v[4:5]
	s_and_saveexec_b64 s[2:3], vcc
	s_xor_b64 s[22:23], exec, s[2:3]
	s_cbranch_execz .LBB0_4
; %bb.3:                                ;   in Loop: Header=BB0_2 Depth=1
	v_cvt_f32_u32_e32 v1, s20
	v_cvt_f32_u32_e32 v5, s21
	s_sub_u32 s2, 0, s20
	s_subb_u32 s3, 0, s21
	v_fmac_f32_e32 v1, 0x4f800000, v5
	v_rcp_f32_e32 v1, v1
	s_nop 0
	v_mul_f32_e32 v1, 0x5f7ffffc, v1
	v_mul_f32_e32 v5, 0x2f800000, v1
	v_trunc_f32_e32 v5, v5
	v_fmac_f32_e32 v1, 0xcf800000, v5
	v_cvt_u32_f32_e32 v5, v5
	v_cvt_u32_f32_e32 v1, v1
	v_mul_lo_u32 v8, s2, v5
	v_mul_hi_u32 v10, s2, v1
	v_mul_lo_u32 v9, s3, v1
	v_add_u32_e32 v10, v10, v8
	v_mul_lo_u32 v12, s2, v1
	v_add_u32_e32 v13, v10, v9
	v_mul_hi_u32 v8, v1, v12
	v_mul_hi_u32 v11, v1, v13
	v_mul_lo_u32 v10, v1, v13
	v_mov_b32_e32 v9, v4
	v_lshl_add_u64 v[8:9], v[8:9], 0, v[10:11]
	v_mul_hi_u32 v11, v5, v12
	v_mul_lo_u32 v12, v5, v12
	v_add_co_u32_e32 v8, vcc, v8, v12
	v_mul_hi_u32 v10, v5, v13
	s_nop 0
	v_addc_co_u32_e32 v8, vcc, v9, v11, vcc
	v_mov_b32_e32 v9, v4
	s_nop 0
	v_addc_co_u32_e32 v11, vcc, 0, v10, vcc
	v_mul_lo_u32 v10, v5, v13
	v_lshl_add_u64 v[8:9], v[8:9], 0, v[10:11]
	v_add_co_u32_e32 v1, vcc, v1, v8
	v_mul_lo_u32 v10, s2, v1
	s_nop 0
	v_addc_co_u32_e32 v5, vcc, v5, v9, vcc
	v_mul_lo_u32 v8, s2, v5
	v_mul_hi_u32 v9, s2, v1
	v_add_u32_e32 v8, v9, v8
	v_mul_lo_u32 v9, s3, v1
	v_add_u32_e32 v12, v8, v9
	v_mul_hi_u32 v14, v5, v10
	v_mul_lo_u32 v15, v5, v10
	v_mul_hi_u32 v9, v1, v12
	v_mul_lo_u32 v8, v1, v12
	v_mul_hi_u32 v10, v1, v10
	v_mov_b32_e32 v11, v4
	v_lshl_add_u64 v[8:9], v[10:11], 0, v[8:9]
	v_add_co_u32_e32 v8, vcc, v8, v15
	v_mul_hi_u32 v13, v5, v12
	s_nop 0
	v_addc_co_u32_e32 v8, vcc, v9, v14, vcc
	v_mul_lo_u32 v10, v5, v12
	s_nop 0
	v_addc_co_u32_e32 v11, vcc, 0, v13, vcc
	v_mov_b32_e32 v9, v4
	v_lshl_add_u64 v[8:9], v[8:9], 0, v[10:11]
	v_add_co_u32_e32 v1, vcc, v1, v8
	v_mul_hi_u32 v10, v6, v1
	s_nop 0
	v_addc_co_u32_e32 v5, vcc, v5, v9, vcc
	v_mad_u64_u32 v[8:9], s[2:3], v6, v5, 0
	v_mov_b32_e32 v11, v4
	v_lshl_add_u64 v[8:9], v[10:11], 0, v[8:9]
	v_mad_u64_u32 v[12:13], s[2:3], v7, v1, 0
	v_add_co_u32_e32 v1, vcc, v8, v12
	v_mad_u64_u32 v[10:11], s[2:3], v7, v5, 0
	s_nop 0
	v_addc_co_u32_e32 v8, vcc, v9, v13, vcc
	v_mov_b32_e32 v9, v4
	s_nop 0
	v_addc_co_u32_e32 v11, vcc, 0, v11, vcc
	v_lshl_add_u64 v[8:9], v[8:9], 0, v[10:11]
	v_mul_lo_u32 v1, s21, v8
	v_mul_lo_u32 v5, s20, v9
	v_mad_u64_u32 v[10:11], s[2:3], s20, v8, 0
	v_add3_u32 v1, v11, v5, v1
	v_sub_u32_e32 v5, v7, v1
	v_mov_b32_e32 v11, s21
	v_sub_co_u32_e32 v14, vcc, v6, v10
	v_lshl_add_u64 v[12:13], v[8:9], 0, 1
	s_nop 0
	v_subb_co_u32_e64 v5, s[2:3], v5, v11, vcc
	v_subrev_co_u32_e64 v10, s[2:3], s20, v14
	v_subb_co_u32_e32 v1, vcc, v7, v1, vcc
	s_nop 0
	v_subbrev_co_u32_e64 v5, s[2:3], 0, v5, s[2:3]
	v_cmp_le_u32_e64 s[2:3], s21, v5
	v_cmp_le_u32_e32 vcc, s21, v1
	s_nop 0
	v_cndmask_b32_e64 v11, 0, -1, s[2:3]
	v_cmp_le_u32_e64 s[2:3], s20, v10
	s_nop 1
	v_cndmask_b32_e64 v10, 0, -1, s[2:3]
	v_cmp_eq_u32_e64 s[2:3], s21, v5
	s_nop 1
	v_cndmask_b32_e64 v5, v11, v10, s[2:3]
	v_lshl_add_u64 v[10:11], v[8:9], 0, 2
	v_cmp_ne_u32_e64 s[2:3], 0, v5
	s_nop 1
	v_cndmask_b32_e64 v5, v13, v11, s[2:3]
	v_cndmask_b32_e64 v11, 0, -1, vcc
	v_cmp_le_u32_e32 vcc, s20, v14
	s_nop 1
	v_cndmask_b32_e64 v13, 0, -1, vcc
	v_cmp_eq_u32_e32 vcc, s21, v1
	s_nop 1
	v_cndmask_b32_e32 v1, v11, v13, vcc
	v_cmp_ne_u32_e32 vcc, 0, v1
	v_cndmask_b32_e64 v1, v12, v10, s[2:3]
	s_nop 0
	v_cndmask_b32_e32 v9, v9, v5, vcc
	v_cndmask_b32_e32 v8, v8, v1, vcc
.LBB0_4:                                ;   in Loop: Header=BB0_2 Depth=1
	s_andn2_saveexec_b64 s[2:3], s[22:23]
	s_cbranch_execz .LBB0_6
; %bb.5:                                ;   in Loop: Header=BB0_2 Depth=1
	v_cvt_f32_u32_e32 v1, s20
	s_sub_i32 s22, 0, s20
	v_rcp_iflag_f32_e32 v1, v1
	s_nop 0
	v_mul_f32_e32 v1, 0x4f7ffffe, v1
	v_cvt_u32_f32_e32 v1, v1
	v_mul_lo_u32 v5, s22, v1
	v_mul_hi_u32 v5, v1, v5
	v_add_u32_e32 v1, v1, v5
	v_mul_hi_u32 v1, v6, v1
	v_mul_lo_u32 v5, v1, s20
	v_sub_u32_e32 v5, v6, v5
	v_add_u32_e32 v8, 1, v1
	v_subrev_u32_e32 v9, s20, v5
	v_cmp_le_u32_e32 vcc, s20, v5
	s_nop 1
	v_cndmask_b32_e32 v5, v5, v9, vcc
	v_cndmask_b32_e32 v1, v1, v8, vcc
	v_add_u32_e32 v8, 1, v1
	v_cmp_le_u32_e32 vcc, s20, v5
	v_mov_b32_e32 v9, v4
	s_nop 0
	v_cndmask_b32_e32 v8, v1, v8, vcc
.LBB0_6:                                ;   in Loop: Header=BB0_2 Depth=1
	s_or_b64 exec, exec, s[2:3]
	v_mad_u64_u32 v[10:11], s[2:3], v8, s20, 0
	s_load_dwordx2 s[2:3], s[14:15], 0x0
	v_mul_lo_u32 v1, v9, s20
	v_mul_lo_u32 v5, v8, s21
	v_add3_u32 v1, v11, v5, v1
	v_sub_co_u32_e32 v5, vcc, v6, v10
	s_add_u32 s16, s16, 1
	s_nop 0
	v_subb_co_u32_e32 v1, vcc, v7, v1, vcc
	s_addc_u32 s17, s17, 0
	s_waitcnt lgkmcnt(0)
	v_mul_lo_u32 v1, s2, v1
	v_mul_lo_u32 v6, s3, v5
	v_mad_u64_u32 v[2:3], s[2:3], s2, v5, v[2:3]
	s_add_u32 s14, s14, 8
	v_add3_u32 v3, v6, v3, v1
	s_addc_u32 s15, s15, 0
	v_mov_b64_e32 v[6:7], s[6:7]
	s_add_u32 s18, s18, 8
	v_cmp_ge_u64_e32 vcc, s[16:17], v[6:7]
	s_addc_u32 s19, s19, 0
	s_cbranch_vccnz .LBB0_9
; %bb.7:                                ;   in Loop: Header=BB0_2 Depth=1
	v_mov_b64_e32 v[6:7], v[8:9]
	s_branch .LBB0_2
.LBB0_8:
	v_mov_b64_e32 v[8:9], v[6:7]
.LBB0_9:
	s_lshl_b64 s[2:3], s[6:7], 3
	s_add_u32 s2, s12, s2
	s_addc_u32 s3, s13, s3
	s_load_dwordx2 s[6:7], s[2:3], 0x0
	s_load_dwordx2 s[12:13], s[0:1], 0x20
	s_mov_b32 s2, 0x3030304
                                        ; implicit-def: $vgpr21
	s_waitcnt lgkmcnt(0)
	v_mul_lo_u32 v1, s6, v9
	v_mul_lo_u32 v4, s7, v8
	v_mad_u64_u32 v[2:3], s[0:1], s6, v8, v[2:3]
	v_add3_u32 v3, v4, v3, v1
	v_mul_hi_u32 v1, v0, s2
	v_mul_u32_u24_e32 v1, 0x55, v1
	v_cmp_gt_u64_e32 vcc, s[12:13], v[8:9]
	v_cmp_le_u64_e64 s[0:1], s[12:13], v[8:9]
	v_sub_u32_e32 v60, v0, v1
	s_and_saveexec_b64 s[2:3], s[0:1]
	s_xor_b64 s[0:1], exec, s[2:3]
; %bb.10:
	v_add_u32_e32 v21, 0x55, v60
; %bb.11:
	s_or_saveexec_b64 s[0:1], s[0:1]
	v_lshl_add_u64 v[52:53], v[2:3], 3, s[10:11]
                                        ; implicit-def: $vgpr8
                                        ; implicit-def: $vgpr10
                                        ; implicit-def: $vgpr14
                                        ; implicit-def: $vgpr16
                                        ; implicit-def: $vgpr18
                                        ; implicit-def: $vgpr0
                                        ; implicit-def: $vgpr2
                                        ; implicit-def: $vgpr4
                                        ; implicit-def: $vgpr6
                                        ; implicit-def: $vgpr12
	s_xor_b64 exec, exec, s[0:1]
	s_cbranch_execz .LBB0_13
; %bb.12:
	v_mad_u64_u32 v[0:1], s[2:3], s8, v60, 0
	v_mov_b32_e32 v2, v1
	v_mad_u64_u32 v[2:3], s[2:3], s9, v60, v[2:3]
	v_mov_b32_e32 v1, v2
	v_add_u32_e32 v21, 0x55, v60
	v_lshl_add_u64 v[22:23], v[0:1], 3, v[52:53]
	v_mad_u64_u32 v[0:1], s[2:3], s8, v21, 0
	v_mov_b32_e32 v2, v1
	v_mad_u64_u32 v[2:3], s[2:3], s9, v21, v[2:3]
	v_mov_b32_e32 v1, v2
	v_add_u32_e32 v3, 0xaa, v60
	v_lshl_add_u64 v[24:25], v[0:1], 3, v[52:53]
	;; [unrolled: 6-line block ×9, first 2 shown]
	v_mad_u64_u32 v[0:1], s[2:3], s8, v3, 0
	v_mov_b32_e32 v2, v1
	v_mad_u64_u32 v[2:3], s[2:3], s9, v3, v[2:3]
	v_mov_b32_e32 v1, v2
	v_lshl_add_u64 v[40:41], v[0:1], 3, v[52:53]
	global_load_dwordx2 v[8:9], v[22:23], off
	global_load_dwordx2 v[0:1], v[24:25], off
	;; [unrolled: 1-line block ×10, first 2 shown]
.LBB0_13:
	s_or_b64 exec, exec, s[0:1]
	s_waitcnt vmcnt(3)
	v_pk_add_f32 v[28:29], v[14:15], v[16:17]
	s_waitcnt vmcnt(1)
	v_pk_add_f32 v[30:31], v[10:11], v[18:19] neg_lo:[0,1] neg_hi:[0,1]
	s_mov_b32 s0, 0x3f737871
	v_pk_fma_f32 v[28:29], v[28:29], 0.5, v[8:9] op_sel_hi:[1,0,1] neg_lo:[1,0,0] neg_hi:[1,0,0]
	v_pk_mul_f32 v[32:33], v[30:31], s[0:1] op_sel_hi:[1,0]
	v_pk_add_f32 v[34:35], v[14:15], v[16:17] neg_lo:[0,1] neg_hi:[0,1]
	s_mov_b32 s6, 0x3f167918
	v_pk_add_f32 v[38:39], v[10:11], v[14:15] neg_lo:[0,1] neg_hi:[0,1]
	v_pk_add_f32 v[40:41], v[18:19], v[16:17] neg_lo:[0,1] neg_hi:[0,1]
	v_pk_mul_f32 v[36:37], v[34:35], s[6:7] op_sel_hi:[1,0]
	v_pk_add_f32 v[38:39], v[38:39], v[40:41]
	v_pk_add_f32 v[40:41], v[28:29], v[32:33] op_sel:[0,1] op_sel_hi:[1,0]
	v_pk_add_f32 v[28:29], v[28:29], v[32:33] op_sel:[0,1] op_sel_hi:[1,0] neg_lo:[0,1] neg_hi:[0,1]
	v_pk_add_f32 v[32:33], v[40:41], v[36:37] op_sel:[0,1] op_sel_hi:[1,0]
	v_pk_add_f32 v[40:41], v[4:5], v[6:7]
	s_waitcnt vmcnt(0)
	v_pk_add_f32 v[42:43], v[2:3], v[12:13] neg_lo:[0,1] neg_hi:[0,1]
	v_pk_fma_f32 v[40:41], v[40:41], 0.5, v[0:1] op_sel_hi:[1,0,1] neg_lo:[1,0,0] neg_hi:[1,0,0]
	v_pk_mul_f32 v[44:45], v[42:43], s[0:1] op_sel_hi:[1,0]
	v_pk_add_f32 v[46:47], v[4:5], v[6:7] neg_lo:[0,1] neg_hi:[0,1]
	v_pk_add_f32 v[50:51], v[2:3], v[4:5] neg_lo:[0,1] neg_hi:[0,1]
	;; [unrolled: 1-line block ×3, first 2 shown]
	v_pk_mul_f32 v[48:49], v[46:47], s[6:7] op_sel_hi:[1,0]
	v_pk_add_f32 v[50:51], v[50:51], v[54:55]
	v_pk_add_f32 v[54:55], v[40:41], v[44:45] op_sel:[0,1] op_sel_hi:[1,0]
	v_pk_add_f32 v[40:41], v[40:41], v[44:45] op_sel:[0,1] op_sel_hi:[1,0] neg_lo:[0,1] neg_hi:[0,1]
	v_pk_add_f32 v[44:45], v[54:55], v[48:49] op_sel:[0,1] op_sel_hi:[1,0]
	v_pk_add_f32 v[40:41], v[40:41], v[48:49] op_sel:[0,1] op_sel_hi:[1,0] neg_lo:[0,1] neg_hi:[0,1]
	s_mov_b32 s2, 0x3e9e377a
	v_mov_b32_e32 v48, v44
	v_mov_b32_e32 v49, v41
	v_pk_add_f32 v[22:23], v[8:9], v[10:11]
	v_pk_add_f32 v[24:25], v[0:1], v[2:3]
	v_pk_fma_f32 v[48:49], v[50:51], s[2:3], v[48:49] op_sel_hi:[1,0,1]
	v_pk_add_f32 v[22:23], v[22:23], v[14:15]
	v_pk_add_f32 v[24:25], v[24:25], v[4:5]
	v_pk_add_f32 v[28:29], v[28:29], v[36:37] op_sel:[0,1] op_sel_hi:[1,0] neg_lo:[0,1] neg_hi:[0,1]
	v_pk_mul_f32 v[54:55], v[48:49], s[6:7] op_sel_hi:[1,0]
	s_mov_b32 s10, 0x3f4f1bbd
	v_pk_add_f32 v[22:23], v[22:23], v[16:17]
	v_pk_add_f32 v[24:25], v[24:25], v[6:7]
	v_mov_b32_e32 v36, v32
	v_mov_b32_e32 v37, v29
	v_pk_fma_f32 v[56:57], v[48:49], s[10:11], v[54:55] op_sel:[0,0,1] op_sel_hi:[1,0,0]
	v_pk_fma_f32 v[48:49], v[48:49], s[10:11], v[54:55] op_sel:[0,0,1] op_sel_hi:[1,0,0] neg_lo:[0,0,1] neg_hi:[0,0,1]
	v_mul_u32_u24_e32 v20, 10, v60
	v_pk_add_f32 v[22:23], v[22:23], v[18:19]
	v_pk_add_f32 v[24:25], v[24:25], v[12:13]
	v_pk_fma_f32 v[36:37], v[38:39], s[2:3], v[36:37] op_sel_hi:[1,0,1]
	v_mov_b32_e32 v57, v49
	v_lshl_add_u32 v20, v20, 3, 0
	v_pk_add_f32 v[26:27], v[22:23], v[24:25]
	v_pk_add_f32 v[48:49], v[36:37], v[56:57]
	ds_write2_b64 v20, v[26:27], v[48:49] offset1:1
	v_pk_add_f32 v[26:27], v[10:11], v[18:19]
	v_pk_add_f32 v[10:11], v[14:15], v[10:11] neg_lo:[0,1] neg_hi:[0,1]
	v_pk_add_f32 v[14:15], v[16:17], v[18:19] neg_lo:[0,1] neg_hi:[0,1]
	v_pk_fma_f32 v[8:9], v[26:27], 0.5, v[8:9] op_sel_hi:[1,0,1] neg_lo:[1,0,0] neg_hi:[1,0,0]
	v_pk_add_f32 v[10:11], v[10:11], v[14:15]
	v_pk_mul_f32 v[14:15], v[34:35], s[0:1] op_sel_hi:[1,0]
	v_pk_mul_f32 v[16:17], v[30:31], s[6:7] op_sel_hi:[1,0]
	v_pk_add_f32 v[18:19], v[8:9], v[14:15] op_sel:[0,1] op_sel_hi:[1,0] neg_lo:[0,1] neg_hi:[0,1]
	v_pk_add_f32 v[8:9], v[8:9], v[14:15] op_sel:[0,1] op_sel_hi:[1,0]
	v_pk_add_f32 v[14:15], v[18:19], v[16:17] op_sel:[0,1] op_sel_hi:[1,0]
	v_pk_add_f32 v[18:19], v[2:3], v[12:13]
	v_pk_add_f32 v[2:3], v[4:5], v[2:3] neg_lo:[0,1] neg_hi:[0,1]
	v_pk_add_f32 v[4:5], v[6:7], v[12:13] neg_lo:[0,1] neg_hi:[0,1]
	v_pk_fma_f32 v[0:1], v[18:19], 0.5, v[0:1] op_sel_hi:[1,0,1] neg_lo:[1,0,0] neg_hi:[1,0,0]
	v_pk_add_f32 v[2:3], v[2:3], v[4:5]
	v_pk_mul_f32 v[4:5], v[46:47], s[0:1] op_sel_hi:[1,0]
	v_pk_mul_f32 v[12:13], v[42:43], s[6:7] op_sel_hi:[1,0]
	v_pk_add_f32 v[6:7], v[0:1], v[4:5] op_sel:[0,1] op_sel_hi:[1,0] neg_lo:[0,1] neg_hi:[0,1]
	v_pk_add_f32 v[0:1], v[4:5], v[0:1] op_sel:[1,0] op_sel_hi:[0,1]
	v_pk_add_f32 v[6:7], v[12:13], v[6:7] op_sel:[1,0] op_sel_hi:[0,1]
	v_pk_add_f32 v[0:1], v[0:1], v[12:13] op_sel:[0,1] op_sel_hi:[1,0] neg_lo:[0,1] neg_hi:[0,1]
	v_pk_add_f32 v[8:9], v[8:9], v[16:17] op_sel:[0,1] op_sel_hi:[1,0] neg_lo:[0,1] neg_hi:[0,1]
	v_pk_fma_f32 v[4:5], v[2:3], s[2:3], v[0:1] op_sel_hi:[1,0,1]
	v_mov_b32_e32 v1, v7
	v_pk_fma_f32 v[0:1], v[2:3], s[2:3], v[0:1] op_sel_hi:[1,0,1]
	v_mov_b32_e32 v16, v14
	v_mov_b32_e32 v17, v9
	v_pk_fma_f32 v[18:19], v[2:3], s[2:3], v[6:7] op_sel_hi:[1,0,1]
	s_mov_b32 s12, 0xbf737871
	s_mov_b32 s13, s0
	v_pk_mul_f32 v[2:3], v[0:1], s[2:3] op_sel_hi:[1,0]
	v_mov_b32_e32 v9, v15
	v_pk_fma_f32 v[16:17], v[10:11], s[2:3], v[16:17] op_sel_hi:[1,0,1]
	v_pk_fma_f32 v[0:1], v[0:1], s[12:13], v[2:3] op_sel:[0,0,1] op_sel_hi:[1,1,0] neg_lo:[0,0,1] neg_hi:[0,0,1]
	v_pk_fma_f32 v[2:3], v[10:11], s[2:3], v[8:9] op_sel_hi:[1,0,1]
	s_mov_b32 s3, s0
	v_pk_mul_f32 v[6:7], v[18:19], s[2:3] op_sel_hi:[0,1]
	s_mov_b32 s1, s2
	v_pk_fma_f32 v[8:9], v[4:5], s[0:1], v[6:7] op_sel:[1,0,0]
	v_pk_fma_f32 v[4:5], v[4:5], s[0:1], v[6:7] op_sel:[1,0,0] neg_lo:[0,0,1] neg_hi:[0,0,1]
	v_pk_add_f32 v[6:7], v[2:3], v[0:1] op_sel:[1,0] op_sel_hi:[0,1]
	v_mov_b32_e32 v9, v5
	v_mov_b32_e32 v41, v45
	v_pk_add_f32 v[4:5], v[16:17], v[8:9]
	v_mov_b32_e32 v10, v7
	v_mov_b32_e32 v11, v6
	v_pk_fma_f32 v[6:7], v[50:51], s[2:3], v[40:41] op_sel_hi:[1,0,1]
	ds_write2_b64 v20, v[4:5], v[10:11] offset0:2 offset1:3
	v_mov_b32_e32 v29, v33
	s_mov_b32 s12, 0xbf167918
	s_mov_b32 s13, s6
	v_pk_mul_f32 v[10:11], v[6:7], s[10:11] op_sel_hi:[1,0]
	v_pk_fma_f32 v[4:5], v[38:39], s[2:3], v[28:29] op_sel_hi:[1,0,1]
	v_pk_fma_f32 v[6:7], v[6:7], s[12:13], v[10:11] op_sel:[0,0,1] op_sel_hi:[1,1,0] neg_lo:[0,0,1] neg_hi:[0,0,1]
	v_pk_add_f32 v[0:1], v[2:3], v[0:1] op_sel:[1,0] op_sel_hi:[0,1] neg_lo:[0,1] neg_hi:[0,1]
	s_movk_i32 s1, 0xcd
	v_pk_add_f32 v[10:11], v[4:5], v[6:7] op_sel:[0,1] op_sel_hi:[1,0]
	v_pk_add_f32 v[2:3], v[4:5], v[6:7] op_sel:[0,1] op_sel_hi:[1,0] neg_lo:[0,1] neg_hi:[0,1]
	v_mov_b32_e32 v5, v0
	v_mul_lo_u16_sdwa v0, v21, s1 dst_sel:DWORD dst_unused:UNUSED_PAD src0_sel:BYTE_0 src1_sel:DWORD
	v_pk_add_f32 v[12:13], v[22:23], v[24:25] neg_lo:[0,1] neg_hi:[0,1]
	v_lshrrev_b16_e32 v49, 11, v0
	ds_write2_b64 v20, v[10:11], v[12:13] offset0:4 offset1:5
	v_pk_add_f32 v[10:11], v[36:37], v[56:57] neg_lo:[0,1] neg_hi:[0,1]
	v_pk_add_f32 v[8:9], v[16:17], v[8:9] neg_lo:[0,1] neg_hi:[0,1]
	v_mul_lo_u16_e32 v0, 10, v49
	ds_write2_b64 v20, v[10:11], v[8:9] offset0:6 offset1:7
	v_mov_b32_e32 v8, 5
	v_sub_u16_e32 v54, v21, v0
	v_mov_b32_e32 v4, v1
	v_lshlrev_b32_sdwa v9, v8, v54 dst_sel:DWORD dst_unused:UNUSED_PAD src0_sel:DWORD src1_sel:BYTE_0
	ds_write2_b64 v20, v[4:5], v[2:3] offset0:8 offset1:9
	s_waitcnt lgkmcnt(0)
	s_barrier
	global_load_dwordx4 v[0:3], v9, s[4:5]
	global_load_dwordx4 v[4:7], v9, s[4:5] offset:16
	v_mul_lo_u16_sdwa v9, v60, s1 dst_sel:DWORD dst_unused:UNUSED_PAD src0_sel:BYTE_0 src1_sel:DWORD
	v_lshrrev_b16_e32 v38, 11, v9
	v_mul_lo_u16_e32 v9, 10, v38
	v_sub_u16_e32 v55, v60, v9
	v_lshlrev_b32_sdwa v16, v8, v55 dst_sel:DWORD dst_unused:UNUSED_PAD src0_sel:DWORD src1_sel:BYTE_0
	global_load_dwordx4 v[8:11], v16, s[4:5]
	global_load_dwordx4 v[12:15], v16, s[4:5] offset:16
	s_movk_i32 s1, 0xffb8
	v_mad_i32_i24 v40, v60, s1, v20
	v_add_u32_e32 v22, 0x400, v40
	ds_read2_b64 v[22:25], v22 offset0:127 offset1:212
	v_add_u32_e32 v26, 0x800, v40
	ds_read2_b64 v[26:29], v26 offset0:169 offset1:254
	;; [unrolled: 2-line block ×3, first 2 shown]
	v_lshl_add_u32 v41, v21, 3, 0
	ds_read2_b64 v[16:19], v40 offset1:170
	s_mov_b32 s3, s6
	s_mov_b32 s1, s6
	;; [unrolled: 1-line block ×3, first 2 shown]
	s_waitcnt vmcnt(3) lgkmcnt(3)
	v_mul_f32_e32 v39, v1, v22
	v_mul_f32_e32 v35, v0, v22
	;; [unrolled: 1-line block ×3, first 2 shown]
	v_fmac_f32_e32 v39, v0, v23
	s_waitcnt lgkmcnt(2)
	v_pk_mul_f32 v[0:1], v[26:27], v[2:3]
	v_mov_b32_e32 v22, v27
	v_mov_b32_e32 v34, v0
	;; [unrolled: 1-line block ×3, first 2 shown]
	v_pk_add_f32 v[0:1], v[34:35], v[36:37] neg_lo:[0,1] neg_hi:[0,1]
	v_mov_b32_e32 v34, v3
	v_pk_mul_f32 v[26:27], v[26:27], v[34:35]
	ds_read_b64 v[34:35], v40 offset:6120
	s_waitcnt vmcnt(2)
	v_mov_b32_e32 v21, v4
	v_pk_fma_f32 v[22:23], v[22:23], v[2:3], v[26:27]
	s_waitcnt lgkmcnt(2)
	v_pk_mul_f32 v[26:27], v[30:31], v[20:21]
	v_mov_b32_e32 v21, v30
	v_pk_mul_f32 v[2:3], v[30:31], v[4:5]
	ds_read_b64 v[30:31], v41
	v_pk_mul_f32 v[4:5], v[20:21], v[4:5]
	v_mov_b32_e32 v21, v6
	s_waitcnt lgkmcnt(1)
	v_pk_mul_f32 v[36:37], v[34:35], v[20:21] op_sel:[1,0] op_sel_hi:[0,1]
	v_pk_mul_f32 v[40:41], v[34:35], v[6:7]
	v_mov_b32_e32 v36, v2
	v_mov_b32_e32 v40, v3
	v_pk_mul_f32 v[6:7], v[34:35], v[6:7] op_sel:[1,0] op_sel_hi:[0,1]
	v_pk_add_f32 v[2:3], v[36:37], v[40:41] neg_lo:[0,1] neg_hi:[0,1]
	v_mov_b32_e32 v26, v6
	v_mov_b32_e32 v4, v7
	s_waitcnt vmcnt(1)
	v_pk_mul_f32 v[44:45], v[10:11], v[24:25] op_sel:[0,1]
	v_pk_add_f32 v[26:27], v[26:27], v[4:5]
	v_pk_add_f32 v[4:5], v[0:1], v[2:3]
	v_mov_b32_e32 v6, v1
	v_mov_b32_e32 v7, v3
	;; [unrolled: 1-line block ×4, first 2 shown]
	v_pk_fma_f32 v[46:47], v[10:11], v[24:25], v[44:45] op_sel:[0,0,1] op_sel_hi:[1,1,0] neg_lo:[0,0,1] neg_hi:[0,0,1]
	v_pk_fma_f32 v[10:11], v[10:11], v[24:25], v[44:45] op_sel:[0,0,1] op_sel_hi:[1,0,0]
	v_pk_mul_f32 v[24:25], v[8:9], v[18:19] op_sel:[0,1]
	v_mul_f32_e32 v34, 0.5, v4
	v_mov_b32_e32 v4, v27
	v_pk_fma_f32 v[44:45], v[8:9], v[18:19], v[24:25] op_sel:[0,0,1] op_sel_hi:[1,1,0] neg_lo:[0,0,1] neg_hi:[0,0,1]
	v_pk_fma_f32 v[8:9], v[8:9], v[18:19], v[24:25] op_sel:[0,0,1] op_sel_hi:[1,0,0]
	v_pk_add_f32 v[18:19], v[6:7], v[42:43] neg_lo:[0,1] neg_hi:[0,1]
	v_pk_add_f32 v[40:41], v[22:23], v[4:5] neg_lo:[0,1] neg_hi:[0,1]
	v_mov_b32_e32 v4, v19
	v_pk_add_f32 v[18:19], v[18:19], v[4:5]
	v_mul_f32_e32 v24, 0.5, v5
	v_pk_add_f32 v[4:5], v[42:43], v[6:7] neg_lo:[0,1] neg_hi:[0,1]
	v_sub_f32_e32 v21, v39, v26
	v_mov_b32_e32 v6, v5
	v_pk_add_f32 v[4:5], v[4:5], v[6:7]
	v_mov_b32_e32 v45, v9
	v_mov_b32_e32 v5, v21
	v_pk_mul_f32 v[42:43], v[4:5], s[2:3]
	s_waitcnt vmcnt(0)
	v_pk_mul_f32 v[4:5], v[12:13], v[28:29] op_sel:[0,1]
	v_mov_b32_e32 v47, v11
	v_pk_fma_f32 v[8:9], v[12:13], v[28:29], v[4:5] op_sel:[0,0,1] op_sel_hi:[1,1,0] neg_lo:[0,0,1] neg_hi:[0,0,1]
	v_pk_fma_f32 v[4:5], v[12:13], v[28:29], v[4:5] op_sel:[0,0,1] op_sel_hi:[1,0,0]
	v_pk_add_f32 v[6:7], v[46:47], v[44:45] neg_lo:[0,1] neg_hi:[0,1]
	v_mov_b32_e32 v9, v5
	v_pk_mul_f32 v[4:5], v[14:15], v[32:33] op_sel:[0,1]
	v_pk_add_f32 v[28:29], v[46:47], v[8:9] neg_lo:[0,1] neg_hi:[0,1]
	v_pk_fma_f32 v[12:13], v[14:15], v[32:33], v[4:5] op_sel:[0,0,1] op_sel_hi:[1,1,0] neg_lo:[0,0,1] neg_hi:[0,0,1]
	v_pk_fma_f32 v[4:5], v[14:15], v[32:33], v[4:5] op_sel:[0,0,1] op_sel_hi:[1,0,0]
	v_mov_b32_e32 v25, 3
	v_mov_b32_e32 v13, v5
	v_pk_add_f32 v[4:5], v[44:45], v[12:13]
	v_pk_add_f32 v[10:11], v[8:9], v[12:13] neg_lo:[0,1] neg_hi:[0,1]
	v_pk_fma_f32 v[4:5], v[4:5], 0.5, v[16:17] op_sel_hi:[1,0,1] neg_lo:[1,0,0] neg_hi:[1,0,0]
	v_pk_add_f32 v[14:15], v[44:45], v[12:13] neg_lo:[0,1] neg_hi:[0,1]
	v_pk_add_f32 v[6:7], v[6:7], v[10:11]
	v_pk_fma_f32 v[10:11], v[28:29], s[0:1], v[4:5] op_sel:[1,0,0] op_sel_hi:[0,0,1] neg_lo:[1,0,0] neg_hi:[1,0,0]
	v_pk_fma_f32 v[4:5], v[28:29], s[0:1], v[4:5] op_sel:[1,0,0] op_sel_hi:[0,0,1]
	v_pk_fma_f32 v[32:33], v[14:15], s[6:7], v[4:5] op_sel:[1,0,0] op_sel_hi:[0,0,1] neg_lo:[1,0,0] neg_hi:[1,0,0]
	v_pk_fma_f32 v[4:5], v[14:15], s[6:7], v[10:11] op_sel:[1,0,0] op_sel_hi:[0,0,1]
	v_mov_b32_e32 v10, v4
	v_mov_b32_e32 v11, v33
	;; [unrolled: 1-line block ×3, first 2 shown]
	v_pk_fma_f32 v[4:5], v[6:7], s[2:3], v[10:11] op_sel_hi:[1,0,1]
	v_pk_fma_f32 v[6:7], v[6:7], s[2:3], v[32:33] op_sel_hi:[1,0,1]
	v_mul_u32_u24_e32 v10, 0x190, v38
	v_lshlrev_b32_sdwa v32, v25, v55 dst_sel:DWORD dst_unused:UNUSED_PAD src0_sel:DWORD src1_sel:BYTE_0
	v_mov_b32_e32 v38, v1
	v_pk_add_f32 v[50:51], v[0:1], v[2:3] neg_lo:[0,1] neg_hi:[0,1]
	v_add3_u32 v35, 0, v10, v32
	s_waitcnt lgkmcnt(0)
	v_pk_add_f32 v[32:33], v[30:31], v[38:39]
	v_mov_b32_e32 v1, v22
	v_mov_b32_e32 v11, v26
	v_pk_add_f32 v[0:1], v[32:33], v[0:1]
	v_mov_b32_e32 v32, v2
	v_mov_b32_e32 v33, v27
	v_pk_add_f32 v[0:1], v[0:1], v[32:33]
	v_pk_add_f32 v[32:33], v[10:11], v[26:27] neg_lo:[0,1] neg_hi:[0,1]
	v_lshlrev_b32_sdwa v25, v25, v54 dst_sel:DWORD dst_unused:UNUSED_PAD src0_sel:DWORD src1_sel:BYTE_0
	v_pk_add_f32 v[54:55], v[26:27], v[10:11] neg_lo:[0,1] neg_hi:[0,1]
	v_pk_add_f32 v[10:11], v[46:47], v[8:9]
	v_add_f32_e32 v23, v22, v27
	v_add_f32_e32 v32, v39, v26
	v_mov_b32_e32 v2, v3
	v_mov_b32_e32 v3, v26
	v_pk_fma_f32 v[26:27], v[10:11], 0.5, v[16:17] op_sel_hi:[1,0,1] neg_lo:[1,0,0] neg_hi:[1,0,0]
	v_pk_add_f32 v[10:11], v[16:17], v[44:45]
	v_pk_add_f32 v[16:17], v[44:45], v[46:47] neg_lo:[0,1] neg_hi:[0,1]
	v_pk_add_f32 v[46:47], v[10:11], v[46:47]
	v_mul_u32_u24_e32 v10, 0x190, v49
	v_pk_add_f32 v[44:45], v[12:13], v[8:9] neg_lo:[0,1] neg_hi:[0,1]
	v_add3_u32 v38, 0, v10, v25
	v_pk_add_f32 v[10:11], v[0:1], v[2:3]
	v_pk_add_f32 v[0:1], v[46:47], v[8:9]
	v_pk_fma_f32 v[2:3], v[14:15], s[0:1], v[26:27] op_sel:[1,0,0] op_sel_hi:[0,0,1]
	v_pk_fma_f32 v[8:9], v[14:15], s[0:1], v[26:27] op_sel:[1,0,0] op_sel_hi:[0,0,1] neg_lo:[1,0,0] neg_hi:[1,0,0]
	v_pk_add_f32 v[0:1], v[0:1], v[12:13]
	v_pk_fma_f32 v[8:9], v[28:29], s[6:7], v[8:9] op_sel:[1,0,0] op_sel_hi:[0,0,1] neg_lo:[1,0,0] neg_hi:[1,0,0]
	v_pk_fma_f32 v[12:13], v[28:29], s[6:7], v[2:3] op_sel:[1,0,0] op_sel_hi:[0,0,1]
	v_pk_add_f32 v[16:17], v[16:17], v[44:45]
	v_mov_b32_e32 v2, v12
	v_mov_b32_e32 v3, v9
	;; [unrolled: 1-line block ×3, first 2 shown]
	v_pk_fma_f32 v[2:3], v[16:17], s[2:3], v[2:3] op_sel_hi:[1,0,1]
	v_pk_fma_f32 v[8:9], v[16:17], s[2:3], v[8:9] op_sel_hi:[1,0,1]
	v_mov_b32_e32 v19, v40
	v_pk_mul_f32 v[44:45], v[50:51], s[6:7]
	v_fma_f32 v23, -0.5, v23, v31
	v_fma_f32 v14, -0.5, v32, v31
	s_barrier
	ds_write2_b64 v35, v[0:1], v[2:3] offset1:10
	ds_write2_b64 v35, v[4:5], v[6:7] offset0:20 offset1:30
	ds_write_b64 v35, v[8:9] offset:320
	v_mov_b32_e32 v31, v39
	v_mov_b32_e32 v35, v22
	v_mul_f32_e32 v36, 0x3f737871, v21
	v_pk_mul_f32 v[18:19], v[18:19], s[2:3]
	v_pk_mul_f32 v[56:57], v[50:51], s[0:1]
	v_sub_f32_e32 v25, v23, v45
	v_pk_add_f32 v[26:27], v[30:31], v[34:35] neg_lo:[0,1] neg_hi:[0,1]
	v_mov_b32_e32 v37, v33
	v_sub_f32_e32 v15, v25, v44
	v_add_f32_e32 v41, v23, v45
	v_add_f32_e32 v23, v56, v14
	v_sub_f32_e32 v32, v14, v56
	v_pk_add_f32 v[12:13], v[26:27], v[36:37]
	v_mov_b32_e32 v14, v19
	s_mov_b32 s3, s2
	v_pk_add_f32 v[16:17], v[14:15], v[12:13]
	v_pk_mul_f32 v[28:29], v[12:13], s[2:3]
	v_mov_b32_e32 v14, v18
	v_mov_b32_e32 v17, v29
	;; [unrolled: 1-line block ×4, first 2 shown]
	v_mul_f32_e32 v48, 0x3f737871, v40
	v_pk_add_f32 v[12:13], v[14:15], v[16:17]
	v_pk_add_f32 v[16:17], v[30:31], v[24:25] neg_lo:[0,1] neg_hi:[0,1]
	v_mov_b32_e32 v49, v55
	v_sub_f32_e32 v23, v23, v57
	v_pk_add_f32 v[14:15], v[16:17], v[48:49] neg_lo:[0,1] neg_hi:[0,1]
	v_pk_add_f32 v[24:25], v[16:17], v[54:55]
	v_mov_b32_e32 v22, v43
	v_pk_add_f32 v[14:15], v[22:23], v[14:15]
	v_pk_mul_f32 v[24:25], v[24:25], s[2:3]
	v_fmac_f32_e32 v16, 0x3f737871, v40
	v_mov_b32_e32 v15, v25
	v_mov_b32_e32 v22, v42
	;; [unrolled: 1-line block ×4, first 2 shown]
	v_pk_add_f32 v[14:15], v[22:23], v[14:15]
	v_pk_add_f32 v[22:23], v[16:17], v[56:57] neg_lo:[0,1] neg_hi:[0,1]
	v_pk_fma_f32 v[16:17], v[50:51], s[0:1], v[16:17]
	v_mov_b32_e32 v43, v25
	v_mov_b32_e32 v23, v17
	v_fmac_f32_e32 v26, 0xbf737871, v21
	v_pk_add_f32 v[16:17], v[42:43], v[22:23]
	v_mov_b32_e32 v27, v41
	v_mov_b32_e32 v22, v19
	;; [unrolled: 1-line block ×3, first 2 shown]
	v_pk_add_f32 v[24:25], v[26:27], v[22:23] neg_lo:[0,1] neg_hi:[0,1]
	v_pk_add_f32 v[22:23], v[26:27], v[22:23]
	v_mov_b32_e32 v19, v29
	v_mov_b32_e32 v25, v23
	v_pk_add_f32 v[18:19], v[18:19], v[24:25]
	v_cmp_gt_u32_e64 s[0:1], 50, v60
	ds_write2_b64 v38, v[10:11], v[12:13] offset1:10
	ds_write2_b64 v38, v[14:15], v[16:17] offset0:20 offset1:30
	ds_write_b64 v38, v[18:19] offset:320
	s_waitcnt lgkmcnt(0)
	s_barrier
	s_waitcnt lgkmcnt(0)
                                        ; implicit-def: $vgpr55
                                        ; implicit-def: $vgpr31
                                        ; implicit-def: $vgpr27
                                        ; implicit-def: $vgpr23
	s_and_saveexec_b64 s[2:3], s[0:1]
	s_cbranch_execnz .LBB0_16
; %bb.14:
	s_or_b64 exec, exec, s[2:3]
	s_and_b64 s[0:1], vcc, s[0:1]
	s_and_saveexec_b64 s[2:3], s[0:1]
	s_cbranch_execnz .LBB0_17
.LBB0_15:
	s_endpgm
.LBB0_16:
	v_mul_i32_i24_e32 v0, 0xffffffb8, v60
	v_add_u32_e32 v32, v20, v0
	v_add_u32_e32 v16, 0x800, v32
	;; [unrolled: 1-line block ×4, first 2 shown]
	ds_read2_b64 v[0:3], v32 offset1:50
	ds_read2_b64 v[4:7], v32 offset0:100 offset1:150
	ds_read2_b64 v[8:11], v32 offset0:200 offset1:250
	;; [unrolled: 1-line block ×7, first 2 shown]
	ds_read_b64 v[54:55], v32 offset:6400
	s_or_b64 exec, exec, s[2:3]
	s_and_b64 s[0:1], vcc, s[0:1]
	s_and_saveexec_b64 s[2:3], s[0:1]
	s_cbranch_execz .LBB0_15
.LBB0_17:
	v_lshlrev_b32_e32 v32, 4, v60
	v_mov_b32_e32 v33, 0
	v_lshl_add_u64 v[56:57], v[32:33], 3, s[4:5]
	global_load_dwordx4 v[48:51], v[56:57], off offset:432
	global_load_dwordx4 v[44:47], v[56:57], off offset:416
	;; [unrolled: 1-line block ×8, first 2 shown]
	s_waitcnt lgkmcnt(0)
	v_mov_b32_e32 v68, v55
	v_add_u32_e32 v59, 50, v60
	v_mov_b32_e32 v58, v29
	v_mov_b32_e32 v56, v31
	;; [unrolled: 1-line block ×5, first 2 shown]
	v_mad_u64_u32 v[66:67], s[0:1], s8, v60, 0
	v_add_u32_e32 v61, 0x64, v60
	v_add_u32_e32 v89, 0x96, v60
	;; [unrolled: 1-line block ×3, first 2 shown]
	v_mov_b32_e32 v88, v21
	s_mov_b32 s24, 0xbeb8f4ab
	s_mov_b32 s6, 0x3f6eb680
	;; [unrolled: 1-line block ×20, first 2 shown]
	s_waitcnt vmcnt(7)
	v_pk_mul_f32 v[70:71], v[68:69], v[50:51] op_sel_hi:[0,1]
	v_pk_mul_f32 v[56:57], v[56:57], v[48:49] op_sel_hi:[0,1]
	v_pk_fma_f32 v[68:69], v[54:55], v[50:51], v[70:71] op_sel:[0,0,1] op_sel_hi:[1,1,0] neg_lo:[0,0,1] neg_hi:[0,0,1]
	v_pk_fma_f32 v[50:51], v[54:55], v[50:51], v[70:71] op_sel:[0,0,1] op_sel_hi:[0,1,0]
	s_waitcnt vmcnt(6)
	v_pk_mul_f32 v[54:55], v[58:59], v[46:47] op_sel_hi:[0,1]
	v_pk_fma_f32 v[70:71], v[30:31], v[48:49], v[56:57] op_sel:[0,0,1] op_sel_hi:[1,1,0] neg_lo:[0,0,1] neg_hi:[0,0,1]
	v_pk_fma_f32 v[48:49], v[30:31], v[48:49], v[56:57] op_sel:[0,0,1] op_sel_hi:[0,1,0]
	v_pk_fma_f32 v[72:73], v[28:29], v[46:47], v[54:55] op_sel:[0,0,1] op_sel_hi:[1,1,0] neg_lo:[0,0,1] neg_hi:[0,0,1]
	v_pk_fma_f32 v[56:57], v[28:29], v[46:47], v[54:55] op_sel:[0,0,1] op_sel_hi:[0,1,0]
	v_pk_mul_f32 v[46:47], v[74:75], v[44:45] op_sel_hi:[0,1]
	v_pk_fma_f32 v[74:75], v[26:27], v[44:45], v[46:47] op_sel:[0,0,1] op_sel_hi:[1,1,0] neg_lo:[0,0,1] neg_hi:[0,0,1]
	v_pk_fma_f32 v[26:27], v[26:27], v[44:45], v[46:47] op_sel:[0,0,1] op_sel_hi:[0,1,0]
	s_waitcnt vmcnt(5)
	v_pk_mul_f32 v[44:45], v[76:77], v[42:43] op_sel_hi:[0,1]
	v_pk_fma_f32 v[76:77], v[24:25], v[42:43], v[44:45] op_sel:[0,0,1] op_sel_hi:[1,1,0] neg_lo:[0,0,1] neg_hi:[0,0,1]
	v_pk_fma_f32 v[24:25], v[24:25], v[42:43], v[44:45] op_sel:[0,0,1] op_sel_hi:[0,1,0]
	v_pk_mul_f32 v[44:45], v[78:79], v[40:41] op_sel_hi:[0,1]
	v_mov_b32_e32 v28, v67
	v_mad_u64_u32 v[54:55], s[0:1], s8, v59, 0
	v_pk_fma_f32 v[78:79], v[22:23], v[40:41], v[44:45] op_sel:[0,0,1] op_sel_hi:[1,1,0] neg_lo:[0,0,1] neg_hi:[0,0,1]
	v_pk_fma_f32 v[22:23], v[22:23], v[40:41], v[44:45] op_sel:[0,0,1] op_sel_hi:[0,1,0]
	v_mad_u64_u32 v[28:29], s[0:1], s9, v60, v[28:29]
	v_mov_b32_e32 v22, v55
	v_mad_u64_u32 v[42:43], s[0:1], s8, v61, 0
	v_mov_b32_e32 v67, v28
	v_mad_u64_u32 v[28:29], s[0:1], s9, v59, v[22:23]
	v_mad_u64_u32 v[40:41], s[0:1], s8, v89, 0
	v_mov_b32_e32 v24, v43
	v_mov_b32_e32 v55, v28
	v_mad_u64_u32 v[28:29], s[0:1], s8, v90, 0
	v_mov_b32_e32 v22, v41
	v_mad_u64_u32 v[44:45], s[0:1], s9, v61, v[24:25]
	v_mov_b32_e32 v26, v29
	v_mov_b32_e32 v30, v19
	v_mad_u64_u32 v[46:47], s[0:1], s9, v89, v[22:23]
	v_mov_b32_e32 v22, v17
	v_mov_b32_e32 v24, v15
	;; [unrolled: 1-line block ×3, first 2 shown]
	v_mad_u64_u32 v[44:45], s[0:1], s9, v90, v[26:27]
	v_mov_b32_e32 v29, v44
	s_waitcnt vmcnt(4)
	v_pk_mul_f32 v[44:45], v[88:89], v[38:39] op_sel_hi:[0,1]
	v_pk_mul_f32 v[30:31], v[30:31], v[36:37] op_sel_hi:[0,1]
	s_waitcnt vmcnt(3)
	v_pk_mul_f32 v[58:59], v[22:23], v[34:35] op_sel_hi:[0,1]
	v_pk_mul_f32 v[88:89], v[24:25], v[32:33] op_sel_hi:[0,1]
	v_mov_b32_e32 v41, v46
	v_pk_fma_f32 v[46:47], v[20:21], v[38:39], v[44:45] op_sel:[0,0,1] op_sel_hi:[1,1,0] neg_lo:[0,0,1] neg_hi:[0,0,1]
	v_pk_fma_f32 v[90:91], v[20:21], v[38:39], v[44:45] op_sel:[0,0,1] op_sel_hi:[0,1,0]
	v_pk_fma_f32 v[44:45], v[18:19], v[36:37], v[30:31] op_sel:[0,0,1] op_sel_hi:[1,1,0] neg_lo:[0,0,1] neg_hi:[0,0,1]
	v_pk_fma_f32 v[92:93], v[18:19], v[36:37], v[30:31] op_sel:[0,0,1] op_sel_hi:[0,1,0]
	;; [unrolled: 2-line block ×4, first 2 shown]
	v_mov_b32_e32 v14, v13
	s_waitcnt vmcnt(2)
	v_pk_mul_f32 v[14:15], v[14:15], v[64:65] op_sel_hi:[0,1]
	v_pk_fma_f32 v[20:21], v[12:13], v[64:65], v[14:15] op_sel:[0,0,1] op_sel_hi:[1,1,0] neg_lo:[0,0,1] neg_hi:[0,0,1]
	v_pk_fma_f32 v[32:33], v[12:13], v[64:65], v[14:15] op_sel:[0,0,1] op_sel_hi:[0,1,0]
	v_mov_b32_e32 v12, v11
	v_pk_mul_f32 v[12:13], v[12:13], v[62:63] op_sel_hi:[0,1]
	v_pk_fma_f32 v[88:89], v[10:11], v[62:63], v[12:13] op_sel:[0,0,1] op_sel_hi:[1,1,0] neg_lo:[0,0,1] neg_hi:[0,0,1]
	v_pk_fma_f32 v[94:95], v[10:11], v[62:63], v[12:13] op_sel:[0,0,1] op_sel_hi:[0,1,0]
	v_mov_b32_e32 v10, v9
	s_waitcnt vmcnt(1)
	v_pk_mul_f32 v[10:11], v[10:11], v[82:83] op_sel_hi:[0,1]
	v_pk_fma_f32 v[96:97], v[8:9], v[82:83], v[10:11] op_sel:[0,0,1] op_sel_hi:[1,1,0] neg_lo:[0,0,1] neg_hi:[0,0,1]
	v_pk_fma_f32 v[82:83], v[8:9], v[82:83], v[10:11] op_sel:[0,0,1] op_sel_hi:[0,1,0]
	v_mov_b32_e32 v8, v7
	v_pk_mul_f32 v[8:9], v[8:9], v[80:81] op_sel_hi:[0,1]
	v_pk_fma_f32 v[98:99], v[6:7], v[80:81], v[8:9] op_sel:[0,0,1] op_sel_hi:[1,1,0] neg_lo:[0,0,1] neg_hi:[0,0,1]
	v_pk_fma_f32 v[80:81], v[6:7], v[80:81], v[8:9] op_sel:[0,0,1] op_sel_hi:[0,1,0]
	v_mov_b32_e32 v6, v5
	s_waitcnt vmcnt(0)
	v_pk_mul_f32 v[6:7], v[6:7], v[86:87] op_sel_hi:[0,1]
	v_pk_fma_f32 v[100:101], v[4:5], v[86:87], v[6:7] op_sel:[0,0,1] op_sel_hi:[1,1,0] neg_lo:[0,0,1] neg_hi:[0,0,1]
	v_pk_fma_f32 v[86:87], v[4:5], v[86:87], v[6:7] op_sel:[0,0,1] op_sel_hi:[0,1,0]
	v_mov_b32_e32 v4, v3
	v_pk_mul_f32 v[4:5], v[4:5], v[84:85] op_sel_hi:[0,1]
	v_pk_fma_f32 v[102:103], v[2:3], v[84:85], v[4:5] op_sel:[0,0,1] op_sel_hi:[1,1,0] neg_lo:[0,0,1] neg_hi:[0,0,1]
	v_pk_fma_f32 v[84:85], v[2:3], v[84:85], v[4:5] op_sel:[0,0,1] op_sel_hi:[0,1,0]
	v_add_u32_e32 v5, 0xfa, v60
	v_mad_u64_u32 v[2:3], s[0:1], s8, v5, 0
	v_mov_b32_e32 v4, v3
	v_mad_u64_u32 v[4:5], s[0:1], s9, v5, v[4:5]
	v_add_u32_e32 v7, 0x12c, v60
	v_mov_b32_e32 v3, v4
	v_mad_u64_u32 v[4:5], s[0:1], s8, v7, 0
	v_mov_b32_e32 v6, v5
	v_mad_u64_u32 v[6:7], s[0:1], s9, v7, v[6:7]
	v_add_u32_e32 v9, 0x15e, v60
	v_mov_b32_e32 v5, v6
	;; [unrolled: 5-line block ×8, first 2 shown]
	v_mad_u64_u32 v[18:19], s[0:1], s8, v21, 0
	v_mov_b32_e32 v22, v19
	v_mad_u64_u32 v[36:37], s[0:1], s9, v21, v[22:23]
	v_add_u32_e32 v21, 0x2bc, v60
	v_mad_u64_u32 v[104:105], s[0:1], s8, v21, 0
	v_mov_b32_e32 v22, v105
	v_mov_b32_e32 v19, v36
	v_mad_u64_u32 v[36:37], s[0:1], s9, v21, v[22:23]
	v_add_u32_e32 v21, 0x2ee, v60
	v_mad_u64_u32 v[106:107], s[0:1], s8, v21, 0
	v_mov_b32_e32 v103, v85
	v_mov_b32_e32 v22, v107
	;; [unrolled: 1-line block ×4, first 2 shown]
	v_pk_add_f32 v[24:25], v[0:1], v[102:103]
	v_mov_b32_e32 v105, v36
	v_mad_u64_u32 v[36:37], s[0:1], s9, v21, v[22:23]
	v_add_u32_e32 v21, 0x320, v60
	v_mov_b32_e32 v99, v81
	v_pk_add_f32 v[24:25], v[24:25], v[100:101]
	v_mad_u64_u32 v[108:109], s[0:1], s8, v21, 0
	v_mov_b32_e32 v97, v83
	v_pk_add_f32 v[24:25], v[24:25], v[98:99]
	v_mov_b32_e32 v22, v109
	v_lshl_add_u64 v[60:61], v[42:43], 3, v[52:53]
	v_mov_b32_e32 v89, v95
	v_pk_add_f32 v[42:43], v[24:25], v[96:97]
	v_mov_b32_e32 v107, v36
	v_mad_u64_u32 v[36:37], s[0:1], s9, v21, v[22:23]
	v_lshl_add_u64 v[64:65], v[40:41], 3, v[52:53]
	v_mov_b32_e32 v40, v85
	v_mov_b32_e32 v41, v102
	v_pk_add_f32 v[80:81], v[42:43], v[88:89]
	v_mov_b32_e32 v42, v51
	v_mov_b32_e32 v43, v68
	;; [unrolled: 1-line block ×8, first 2 shown]
	v_pk_add_f32 v[50:51], v[40:41], v[42:43] neg_lo:[0,1] neg_hi:[0,1]
	v_pk_add_f32 v[42:43], v[40:41], v[42:43]
	v_mov_b32_e32 v40, v49
	v_mov_b32_e32 v41, v70
	v_lshl_add_u64 v[110:111], v[66:67], 3, v[52:53]
	v_lshl_add_u64 v[36:37], v[54:55], 3, v[52:53]
	;; [unrolled: 1-line block ×15, first 2 shown]
	v_mov_b32_e32 v59, v31
	v_pk_add_f32 v[52:53], v[56:57], v[40:41] neg_lo:[0,1] neg_hi:[0,1]
	v_pk_add_f32 v[40:41], v[56:57], v[40:41]
	v_pk_add_f32 v[56:57], v[80:81], v[20:21]
	v_mov_b32_e32 v39, v35
	v_pk_add_f32 v[56:57], v[56:57], v[58:59]
	v_mov_b32_e32 v45, v93
	;; [unrolled: 2-line block ×5, first 2 shown]
	v_pk_add_f32 v[48:49], v[38:39], v[44:45] neg_lo:[0,1] neg_hi:[0,1]
	v_pk_add_f32 v[38:39], v[38:39], v[44:45]
	v_pk_add_f32 v[56:57], v[58:59], v[46:47] neg_lo:[0,1] neg_hi:[0,1]
	v_pk_add_f32 v[44:45], v[58:59], v[46:47]
	;; [unrolled: 2-line block ×3, first 2 shown]
	v_pk_add_f32 v[20:21], v[78:79], v[80:81]
	v_mov_b32_e32 v75, v27
	v_pk_add_f32 v[20:21], v[76:77], v[20:21]
	v_pk_add_f32 v[32:33], v[96:97], v[74:75] neg_lo:[0,1] neg_hi:[0,1]
	v_pk_add_f32 v[20:21], v[74:75], v[20:21]
	v_pk_add_f32 v[26:27], v[96:97], v[74:75]
	;; [unrolled: 1-line block ×3, first 2 shown]
	v_pk_mul_f32 v[74:75], v[50:51], s[24:25] op_sel_hi:[1,0]
	v_pk_add_f32 v[20:21], v[70:71], v[20:21]
	v_pk_add_f32 v[30:31], v[98:99], v[72:73] neg_lo:[0,1] neg_hi:[0,1]
	v_pk_add_f32 v[22:23], v[98:99], v[72:73]
	v_pk_mul_f32 v[72:73], v[52:53], s[34:35] op_sel_hi:[1,0]
	v_pk_add_f32 v[20:21], v[68:69], v[20:21]
	v_pk_fma_f32 v[68:69], v[42:43], s[6:7], v[74:75] op_sel:[1,0,0] op_sel_hi:[0,0,1]
	v_pk_fma_f32 v[70:71], v[42:43], s[6:7], v[74:75] op_sel:[1,0,0] op_sel_hi:[0,0,1] neg_lo:[0,0,1] neg_hi:[0,0,1]
	v_pk_mul_f32 v[78:79], v[30:31], s[38:39] op_sel:[1,0] op_sel_hi:[0,0]
	v_mov_b32_e32 v74, v68
	v_mov_b32_e32 v75, v71
	v_pk_fma_f32 v[80:81], v[40:41], s[4:5], v[72:73] op_sel:[1,0,0] op_sel_hi:[0,0,1]
	v_pk_fma_f32 v[72:73], v[40:41], s[4:5], v[72:73] op_sel:[1,0,0] op_sel_hi:[0,0,1] neg_lo:[0,0,1] neg_hi:[0,0,1]
	v_pk_add_f32 v[34:35], v[88:89], v[76:77] neg_lo:[0,1] neg_hi:[0,1]
	v_pk_add_f32 v[24:25], v[88:89], v[76:77]
	v_pk_fma_f32 v[76:77], v[22:23], s[2:3], v[78:79] op_sel_hi:[1,0,1]
	v_pk_fma_f32 v[78:79], v[22:23], s[2:3], v[78:79] op_sel_hi:[1,0,1] neg_lo:[0,0,1] neg_hi:[0,0,1]
	v_pk_add_f32 v[74:75], v[0:1], v[74:75]
	global_store_dwordx2 v[110:111], v[20:21], off
	v_mov_b32_e32 v20, v80
	v_mov_b32_e32 v21, v73
	v_pk_add_f32 v[20:21], v[74:75], v[20:21]
	v_mov_b32_e32 v74, v76
	v_mov_b32_e32 v75, v79
	s_mov_b32 s0, 0x3dbcf732
	v_pk_add_f32 v[20:21], v[20:21], v[74:75]
	v_pk_mul_f32 v[74:75], v[32:33], s[26:27] op_sel:[1,0] op_sel_hi:[0,0]
	v_pk_fma_f32 v[82:83], v[26:27], s[0:1], v[74:75] op_sel_hi:[1,0,1]
	v_pk_fma_f32 v[74:75], v[26:27], s[0:1], v[74:75] op_sel_hi:[1,0,1] neg_lo:[0,0,1] neg_hi:[0,0,1]
	v_mov_b32_e32 v84, v82
	v_mov_b32_e32 v85, v75
	v_pk_add_f32 v[20:21], v[20:21], v[84:85]
	s_mov_b32 s8, 0xbe8c1d8e
	v_pk_mul_f32 v[84:85], v[34:35], s[14:15] op_sel:[1,0] op_sel_hi:[0,0]
	v_pk_fma_f32 v[86:87], v[24:25], s[8:9], v[84:85] op_sel_hi:[1,0,1]
	v_pk_fma_f32 v[84:85], v[24:25], s[8:9], v[84:85] op_sel_hi:[1,0,1] neg_lo:[0,0,1] neg_hi:[0,0,1]
	v_mov_b32_e32 v88, v86
	v_mov_b32_e32 v89, v85
	v_pk_add_f32 v[20:21], v[20:21], v[88:89]
	v_pk_mul_f32 v[88:89], v[58:59], s[16:17] op_sel:[1,0] op_sel_hi:[0,0]
	v_pk_fma_f32 v[90:91], v[46:47], s[10:11], v[88:89] op_sel_hi:[1,0,1]
	v_pk_fma_f32 v[88:89], v[46:47], s[10:11], v[88:89] op_sel_hi:[1,0,1] neg_lo:[0,0,1] neg_hi:[0,0,1]
	v_mov_b32_e32 v71, v69
	v_mov_b32_e32 v92, v90
	;; [unrolled: 1-line block ×4, first 2 shown]
	v_pk_add_f32 v[68:69], v[0:1], v[70:71]
	v_pk_add_f32 v[20:21], v[20:21], v[92:93]
	v_pk_mul_f32 v[92:93], v[56:57], s[20:21] op_sel:[1,0] op_sel_hi:[0,0]
	v_pk_add_f32 v[68:69], v[68:69], v[72:73]
	v_mov_b32_e32 v79, v77
	v_pk_fma_f32 v[94:95], v[44:45], s[12:13], v[92:93] op_sel_hi:[1,0,1]
	v_pk_fma_f32 v[92:93], v[44:45], s[12:13], v[92:93] op_sel_hi:[1,0,1] neg_lo:[0,0,1] neg_hi:[0,0,1]
	v_pk_add_f32 v[68:69], v[68:69], v[78:79]
	v_mov_b32_e32 v75, v83
	v_mov_b32_e32 v96, v94
	;; [unrolled: 1-line block ×3, first 2 shown]
	v_pk_add_f32 v[68:69], v[68:69], v[74:75]
	v_mov_b32_e32 v85, v87
	v_pk_add_f32 v[20:21], v[20:21], v[96:97]
	v_pk_mul_f32 v[96:97], v[48:49], s[22:23] op_sel:[1,0] op_sel_hi:[0,0]
	v_pk_add_f32 v[68:69], v[68:69], v[84:85]
	v_mov_b32_e32 v89, v91
	v_pk_fma_f32 v[98:99], v[38:39], s[18:19], v[96:97] op_sel_hi:[1,0,1]
	v_pk_fma_f32 v[96:97], v[38:39], s[18:19], v[96:97] op_sel_hi:[1,0,1] neg_lo:[0,0,1] neg_hi:[0,0,1]
	v_pk_add_f32 v[68:69], v[68:69], v[88:89]
	v_mov_b32_e32 v93, v95
	v_mov_b32_e32 v101, v97
	v_pk_add_f32 v[68:69], v[68:69], v[92:93]
	v_mov_b32_e32 v97, v99
	v_pk_add_f32 v[68:69], v[68:69], v[96:97]
	global_store_dwordx2 v[36:37], v[68:69], off
	v_pk_mul_f32 v[36:37], v[50:51], s[34:35] op_sel_hi:[1,0]
	v_pk_mul_f32 v[68:69], v[52:53], s[26:27] op_sel_hi:[1,0]
	v_pk_fma_f32 v[72:73], v[42:43], s[4:5], v[36:37] op_sel:[1,0,0] op_sel_hi:[0,0,1]
	v_pk_fma_f32 v[74:75], v[42:43], s[4:5], v[36:37] op_sel:[1,0,0] op_sel_hi:[0,0,1] neg_lo:[0,0,1] neg_hi:[0,0,1]
	v_mov_b32_e32 v36, v72
	v_mov_b32_e32 v37, v75
	v_pk_fma_f32 v[76:77], v[40:41], s[0:1], v[68:69] op_sel:[1,0,0] op_sel_hi:[0,0,1]
	v_pk_fma_f32 v[68:69], v[40:41], s[0:1], v[68:69] op_sel:[1,0,0] op_sel_hi:[0,0,1] neg_lo:[0,0,1] neg_hi:[0,0,1]
	v_pk_mul_f32 v[70:71], v[30:31], s[16:17] op_sel:[1,0] op_sel_hi:[0,0]
	v_pk_add_f32 v[36:37], v[0:1], v[36:37]
	v_mov_b32_e32 v78, v76
	v_mov_b32_e32 v79, v69
	v_pk_add_f32 v[36:37], v[36:37], v[78:79]
	v_pk_fma_f32 v[78:79], v[22:23], s[10:11], v[70:71] op_sel_hi:[1,0,1]
	v_pk_fma_f32 v[70:71], v[22:23], s[10:11], v[70:71] op_sel_hi:[1,0,1] neg_lo:[0,0,1] neg_hi:[0,0,1]
	v_mov_b32_e32 v80, v78
	v_mov_b32_e32 v81, v71
	v_pk_add_f32 v[36:37], v[36:37], v[80:81]
	v_pk_mul_f32 v[80:81], v[32:33], s[22:23] op_sel:[1,0] op_sel_hi:[0,0]
	v_pk_fma_f32 v[82:83], v[26:27], s[18:19], v[80:81] op_sel_hi:[1,0,1]
	v_pk_fma_f32 v[80:81], v[26:27], s[18:19], v[80:81] op_sel_hi:[1,0,1] neg_lo:[0,0,1] neg_hi:[0,0,1]
	v_mov_b32_e32 v84, v82
	v_mov_b32_e32 v85, v81
	v_pk_add_f32 v[36:37], v[36:37], v[84:85]
	v_pk_mul_f32 v[84:85], v[34:35], s[44:45] op_sel:[1,0] op_sel_hi:[0,0]
	;; [unrolled: 6-line block ×3, first 2 shown]
	v_pk_fma_f32 v[90:91], v[46:47], s[8:9], v[88:89] op_sel_hi:[1,0,1]
	v_pk_fma_f32 v[88:89], v[46:47], s[8:9], v[88:89] op_sel_hi:[1,0,1] neg_lo:[0,0,1] neg_hi:[0,0,1]
	v_mov_b32_e32 v75, v73
	v_mov_b32_e32 v92, v90
	;; [unrolled: 1-line block ×4, first 2 shown]
	v_pk_add_f32 v[72:73], v[0:1], v[74:75]
	v_pk_add_f32 v[36:37], v[36:37], v[92:93]
	v_pk_mul_f32 v[92:93], v[56:57], s[28:29] op_sel:[1,0] op_sel_hi:[0,0]
	v_pk_add_f32 v[68:69], v[72:73], v[68:69]
	v_mov_b32_e32 v71, v79
	v_pk_fma_f32 v[94:95], v[44:45], s[2:3], v[92:93] op_sel_hi:[1,0,1]
	v_pk_fma_f32 v[92:93], v[44:45], s[2:3], v[92:93] op_sel_hi:[1,0,1] neg_lo:[0,0,1] neg_hi:[0,0,1]
	v_pk_add_f32 v[68:69], v[68:69], v[70:71]
	v_mov_b32_e32 v81, v83
	v_mov_b32_e32 v96, v94
	;; [unrolled: 1-line block ×3, first 2 shown]
	v_pk_add_f32 v[68:69], v[68:69], v[80:81]
	v_mov_b32_e32 v85, v87
	v_pk_add_f32 v[36:37], v[36:37], v[96:97]
	v_pk_mul_f32 v[96:97], v[48:49], s[30:31] op_sel:[1,0] op_sel_hi:[0,0]
	v_pk_add_f32 v[68:69], v[68:69], v[84:85]
	v_mov_b32_e32 v89, v91
	v_mov_b32_e32 v100, v98
	v_pk_fma_f32 v[98:99], v[38:39], s[6:7], v[96:97] op_sel_hi:[1,0,1]
	v_pk_fma_f32 v[96:97], v[38:39], s[6:7], v[96:97] op_sel_hi:[1,0,1] neg_lo:[0,0,1] neg_hi:[0,0,1]
	v_pk_add_f32 v[68:69], v[68:69], v[88:89]
	v_mov_b32_e32 v93, v95
	v_pk_add_f32 v[20:21], v[20:21], v[100:101]
	v_mov_b32_e32 v101, v97
	;; [unrolled: 2-line block ×3, first 2 shown]
	v_pk_add_f32 v[68:69], v[68:69], v[96:97]
	global_store_dwordx2 v[60:61], v[68:69], off
	v_pk_mul_f32 v[60:61], v[50:51], s[38:39] op_sel_hi:[1,0]
	v_pk_mul_f32 v[68:69], v[52:53], s[16:17] op_sel_hi:[1,0]
	v_pk_fma_f32 v[72:73], v[42:43], s[2:3], v[60:61] op_sel:[1,0,0] op_sel_hi:[0,0,1]
	v_pk_fma_f32 v[74:75], v[42:43], s[2:3], v[60:61] op_sel:[1,0,0] op_sel_hi:[0,0,1] neg_lo:[0,0,1] neg_hi:[0,0,1]
	v_mov_b32_e32 v60, v72
	v_mov_b32_e32 v61, v75
	v_pk_fma_f32 v[76:77], v[40:41], s[10:11], v[68:69] op_sel:[1,0,0] op_sel_hi:[0,0,1]
	v_pk_fma_f32 v[68:69], v[40:41], s[10:11], v[68:69] op_sel:[1,0,0] op_sel_hi:[0,0,1] neg_lo:[0,0,1] neg_hi:[0,0,1]
	v_pk_mul_f32 v[70:71], v[30:31], s[36:37] op_sel:[1,0] op_sel_hi:[0,0]
	v_pk_add_f32 v[60:61], v[0:1], v[60:61]
	v_mov_b32_e32 v78, v76
	v_mov_b32_e32 v79, v69
	v_pk_add_f32 v[60:61], v[60:61], v[78:79]
	v_pk_fma_f32 v[78:79], v[22:23], s[18:19], v[70:71] op_sel_hi:[1,0,1]
	v_pk_fma_f32 v[70:71], v[22:23], s[18:19], v[70:71] op_sel_hi:[1,0,1] neg_lo:[0,0,1] neg_hi:[0,0,1]
	v_mov_b32_e32 v80, v78
	v_mov_b32_e32 v81, v71
	v_pk_add_f32 v[60:61], v[60:61], v[80:81]
	v_pk_mul_f32 v[80:81], v[32:33], s[40:41] op_sel:[1,0] op_sel_hi:[0,0]
	v_pk_fma_f32 v[82:83], v[26:27], s[8:9], v[80:81] op_sel_hi:[1,0,1]
	v_pk_fma_f32 v[80:81], v[26:27], s[8:9], v[80:81] op_sel_hi:[1,0,1] neg_lo:[0,0,1] neg_hi:[0,0,1]
	v_mov_b32_e32 v84, v82
	v_mov_b32_e32 v85, v81
	s_mov_b32 s36, 0x3f2c7751
	v_pk_add_f32 v[60:61], v[60:61], v[84:85]
	v_pk_mul_f32 v[84:85], v[34:35], s[36:37] op_sel:[1,0] op_sel_hi:[0,0]
	v_pk_fma_f32 v[86:87], v[24:25], s[4:5], v[84:85] op_sel_hi:[1,0,1]
	v_pk_fma_f32 v[84:85], v[24:25], s[4:5], v[84:85] op_sel_hi:[1,0,1] neg_lo:[0,0,1] neg_hi:[0,0,1]
	v_mov_b32_e32 v88, v86
	v_mov_b32_e32 v89, v85
	v_pk_add_f32 v[60:61], v[60:61], v[88:89]
	v_pk_mul_f32 v[88:89], v[58:59], s[24:25] op_sel:[1,0] op_sel_hi:[0,0]
	v_pk_fma_f32 v[90:91], v[46:47], s[6:7], v[88:89] op_sel_hi:[1,0,1]
	v_pk_fma_f32 v[88:89], v[46:47], s[6:7], v[88:89] op_sel_hi:[1,0,1] neg_lo:[0,0,1] neg_hi:[0,0,1]
	v_mov_b32_e32 v75, v73
	v_mov_b32_e32 v92, v90
	;; [unrolled: 1-line block ×4, first 2 shown]
	v_pk_add_f32 v[72:73], v[0:1], v[74:75]
	v_pk_add_f32 v[60:61], v[60:61], v[92:93]
	v_pk_mul_f32 v[92:93], v[56:57], s[26:27] op_sel:[1,0] op_sel_hi:[0,0]
	v_pk_add_f32 v[68:69], v[72:73], v[68:69]
	v_mov_b32_e32 v71, v79
	v_pk_fma_f32 v[94:95], v[44:45], s[0:1], v[92:93] op_sel_hi:[1,0,1]
	v_pk_fma_f32 v[92:93], v[44:45], s[0:1], v[92:93] op_sel_hi:[1,0,1] neg_lo:[0,0,1] neg_hi:[0,0,1]
	v_pk_add_f32 v[68:69], v[68:69], v[70:71]
	v_mov_b32_e32 v81, v83
	v_mov_b32_e32 v96, v94
	;; [unrolled: 1-line block ×3, first 2 shown]
	v_pk_add_f32 v[68:69], v[68:69], v[80:81]
	v_mov_b32_e32 v85, v87
	v_pk_add_f32 v[60:61], v[60:61], v[96:97]
	v_pk_mul_f32 v[96:97], v[48:49], s[20:21] op_sel:[1,0] op_sel_hi:[0,0]
	v_pk_add_f32 v[68:69], v[68:69], v[84:85]
	v_mov_b32_e32 v89, v91
	v_mov_b32_e32 v100, v98
	v_pk_fma_f32 v[98:99], v[38:39], s[12:13], v[96:97] op_sel_hi:[1,0,1]
	v_pk_fma_f32 v[96:97], v[38:39], s[12:13], v[96:97] op_sel_hi:[1,0,1] neg_lo:[0,0,1] neg_hi:[0,0,1]
	v_pk_add_f32 v[68:69], v[68:69], v[88:89]
	v_mov_b32_e32 v93, v95
	v_pk_add_f32 v[36:37], v[36:37], v[100:101]
	v_mov_b32_e32 v101, v97
	;; [unrolled: 2-line block ×3, first 2 shown]
	v_pk_add_f32 v[68:69], v[68:69], v[96:97]
	global_store_dwordx2 v[64:65], v[68:69], off
	v_pk_mul_f32 v[64:65], v[50:51], s[26:27] op_sel_hi:[1,0]
	v_pk_mul_f32 v[68:69], v[52:53], s[22:23] op_sel_hi:[1,0]
	v_pk_fma_f32 v[72:73], v[42:43], s[0:1], v[64:65] op_sel:[1,0,0] op_sel_hi:[0,0,1]
	v_pk_fma_f32 v[74:75], v[42:43], s[0:1], v[64:65] op_sel:[1,0,0] op_sel_hi:[0,0,1] neg_lo:[0,0,1] neg_hi:[0,0,1]
	v_mov_b32_e32 v64, v72
	v_mov_b32_e32 v65, v75
	v_pk_fma_f32 v[76:77], v[40:41], s[18:19], v[68:69] op_sel:[1,0,0] op_sel_hi:[0,0,1]
	v_pk_fma_f32 v[68:69], v[40:41], s[18:19], v[68:69] op_sel:[1,0,0] op_sel_hi:[0,0,1] neg_lo:[0,0,1] neg_hi:[0,0,1]
	v_pk_mul_f32 v[70:71], v[30:31], s[40:41] op_sel:[1,0] op_sel_hi:[0,0]
	v_pk_add_f32 v[64:65], v[0:1], v[64:65]
	v_mov_b32_e32 v78, v76
	v_mov_b32_e32 v79, v69
	v_pk_add_f32 v[64:65], v[64:65], v[78:79]
	v_pk_fma_f32 v[78:79], v[22:23], s[8:9], v[70:71] op_sel_hi:[1,0,1]
	v_pk_fma_f32 v[70:71], v[22:23], s[8:9], v[70:71] op_sel_hi:[1,0,1] neg_lo:[0,0,1] neg_hi:[0,0,1]
	v_mov_b32_e32 v80, v78
	v_mov_b32_e32 v81, v71
	v_pk_add_f32 v[64:65], v[64:65], v[80:81]
	v_pk_mul_f32 v[80:81], v[32:33], s[30:31] op_sel:[1,0] op_sel_hi:[0,0]
	v_pk_fma_f32 v[82:83], v[26:27], s[6:7], v[80:81] op_sel_hi:[1,0,1]
	v_pk_fma_f32 v[80:81], v[26:27], s[6:7], v[80:81] op_sel_hi:[1,0,1] neg_lo:[0,0,1] neg_hi:[0,0,1]
	v_mov_b32_e32 v84, v82
	v_mov_b32_e32 v85, v81
	v_pk_add_f32 v[64:65], v[64:65], v[84:85]
	v_pk_mul_f32 v[84:85], v[34:35], s[38:39] op_sel:[1,0] op_sel_hi:[0,0]
	;; [unrolled: 6-line block ×3, first 2 shown]
	v_pk_fma_f32 v[90:91], v[46:47], s[12:13], v[88:89] op_sel_hi:[1,0,1]
	v_pk_fma_f32 v[88:89], v[46:47], s[12:13], v[88:89] op_sel_hi:[1,0,1] neg_lo:[0,0,1] neg_hi:[0,0,1]
	v_mov_b32_e32 v75, v73
	v_mov_b32_e32 v92, v90
	;; [unrolled: 1-line block ×4, first 2 shown]
	v_pk_add_f32 v[72:73], v[0:1], v[74:75]
	v_pk_add_f32 v[64:65], v[64:65], v[92:93]
	v_pk_mul_f32 v[92:93], v[56:57], s[42:43] op_sel:[1,0] op_sel_hi:[0,0]
	v_pk_add_f32 v[68:69], v[72:73], v[68:69]
	v_mov_b32_e32 v71, v79
	v_pk_fma_f32 v[94:95], v[44:45], s[10:11], v[92:93] op_sel_hi:[1,0,1]
	v_pk_fma_f32 v[92:93], v[44:45], s[10:11], v[92:93] op_sel_hi:[1,0,1] neg_lo:[0,0,1] neg_hi:[0,0,1]
	v_pk_add_f32 v[68:69], v[68:69], v[70:71]
	v_mov_b32_e32 v81, v83
	v_mov_b32_e32 v96, v94
	;; [unrolled: 1-line block ×3, first 2 shown]
	v_pk_add_f32 v[68:69], v[68:69], v[80:81]
	v_mov_b32_e32 v85, v87
	v_pk_add_f32 v[64:65], v[64:65], v[96:97]
	v_pk_mul_f32 v[96:97], v[48:49], s[36:37] op_sel:[1,0] op_sel_hi:[0,0]
	v_pk_add_f32 v[68:69], v[68:69], v[84:85]
	v_mov_b32_e32 v89, v91
	v_mov_b32_e32 v100, v98
	v_pk_fma_f32 v[98:99], v[38:39], s[4:5], v[96:97] op_sel_hi:[1,0,1]
	v_pk_fma_f32 v[96:97], v[38:39], s[4:5], v[96:97] op_sel_hi:[1,0,1] neg_lo:[0,0,1] neg_hi:[0,0,1]
	v_pk_add_f32 v[68:69], v[68:69], v[88:89]
	v_mov_b32_e32 v93, v95
	v_pk_add_f32 v[60:61], v[60:61], v[100:101]
	v_mov_b32_e32 v101, v97
	;; [unrolled: 2-line block ×3, first 2 shown]
	v_pk_add_f32 v[68:69], v[68:69], v[96:97]
	global_store_dwordx2 v[66:67], v[68:69], off
	v_pk_mul_f32 v[66:67], v[50:51], s[14:15] op_sel_hi:[1,0]
	v_pk_mul_f32 v[68:69], v[52:53], s[44:45] op_sel_hi:[1,0]
	v_pk_fma_f32 v[72:73], v[42:43], s[8:9], v[66:67] op_sel:[1,0,0] op_sel_hi:[0,0,1]
	v_pk_fma_f32 v[74:75], v[42:43], s[8:9], v[66:67] op_sel:[1,0,0] op_sel_hi:[0,0,1] neg_lo:[0,0,1] neg_hi:[0,0,1]
	v_mov_b32_e32 v66, v72
	v_mov_b32_e32 v67, v75
	v_pk_fma_f32 v[76:77], v[40:41], s[12:13], v[68:69] op_sel:[1,0,0] op_sel_hi:[0,0,1]
	v_pk_fma_f32 v[68:69], v[40:41], s[12:13], v[68:69] op_sel:[1,0,0] op_sel_hi:[0,0,1] neg_lo:[0,0,1] neg_hi:[0,0,1]
	v_pk_mul_f32 v[70:71], v[30:31], s[36:37] op_sel:[1,0] op_sel_hi:[0,0]
	v_pk_add_f32 v[66:67], v[0:1], v[66:67]
	v_mov_b32_e32 v78, v76
	v_mov_b32_e32 v79, v69
	v_pk_add_f32 v[66:67], v[66:67], v[78:79]
	v_pk_fma_f32 v[78:79], v[22:23], s[4:5], v[70:71] op_sel_hi:[1,0,1]
	v_pk_fma_f32 v[70:71], v[22:23], s[4:5], v[70:71] op_sel_hi:[1,0,1] neg_lo:[0,0,1] neg_hi:[0,0,1]
	v_mov_b32_e32 v80, v78
	v_mov_b32_e32 v81, v71
	v_pk_add_f32 v[66:67], v[66:67], v[80:81]
	v_pk_mul_f32 v[80:81], v[32:33], s[38:39] op_sel:[1,0] op_sel_hi:[0,0]
	v_pk_fma_f32 v[82:83], v[26:27], s[2:3], v[80:81] op_sel_hi:[1,0,1]
	v_pk_fma_f32 v[80:81], v[26:27], s[2:3], v[80:81] op_sel_hi:[1,0,1] neg_lo:[0,0,1] neg_hi:[0,0,1]
	v_mov_b32_e32 v84, v82
	v_mov_b32_e32 v85, v81
	v_pk_add_f32 v[66:67], v[66:67], v[84:85]
	v_pk_mul_f32 v[84:85], v[34:35], s[22:23] op_sel:[1,0] op_sel_hi:[0,0]
	v_pk_fma_f32 v[86:87], v[24:25], s[18:19], v[84:85] op_sel_hi:[1,0,1]
	v_pk_fma_f32 v[84:85], v[24:25], s[18:19], v[84:85] op_sel_hi:[1,0,1] neg_lo:[0,0,1] neg_hi:[0,0,1]
	v_mov_b32_e32 v88, v86
	v_mov_b32_e32 v89, v85
	s_mov_b32 s38, 0x3f7ee86f
	v_pk_add_f32 v[66:67], v[66:67], v[88:89]
	v_pk_mul_f32 v[88:89], v[58:59], s[38:39] op_sel:[1,0] op_sel_hi:[0,0]
	v_pk_fma_f32 v[90:91], v[46:47], s[0:1], v[88:89] op_sel_hi:[1,0,1]
	v_pk_fma_f32 v[88:89], v[46:47], s[0:1], v[88:89] op_sel_hi:[1,0,1] neg_lo:[0,0,1] neg_hi:[0,0,1]
	v_mov_b32_e32 v75, v73
	v_mov_b32_e32 v92, v90
	;; [unrolled: 1-line block ×4, first 2 shown]
	v_pk_add_f32 v[72:73], v[0:1], v[74:75]
	v_pk_add_f32 v[66:67], v[66:67], v[92:93]
	v_pk_mul_f32 v[92:93], v[56:57], s[24:25] op_sel:[1,0] op_sel_hi:[0,0]
	v_pk_add_f32 v[68:69], v[72:73], v[68:69]
	v_mov_b32_e32 v71, v79
	v_pk_fma_f32 v[94:95], v[44:45], s[6:7], v[92:93] op_sel_hi:[1,0,1]
	v_pk_fma_f32 v[92:93], v[44:45], s[6:7], v[92:93] op_sel_hi:[1,0,1] neg_lo:[0,0,1] neg_hi:[0,0,1]
	v_pk_add_f32 v[68:69], v[68:69], v[70:71]
	v_mov_b32_e32 v81, v83
	v_mov_b32_e32 v96, v94
	;; [unrolled: 1-line block ×3, first 2 shown]
	v_pk_add_f32 v[68:69], v[68:69], v[80:81]
	v_mov_b32_e32 v85, v87
	v_pk_add_f32 v[66:67], v[66:67], v[96:97]
	v_pk_mul_f32 v[96:97], v[48:49], s[16:17] op_sel:[1,0] op_sel_hi:[0,0]
	v_pk_add_f32 v[68:69], v[68:69], v[84:85]
	v_mov_b32_e32 v89, v91
	v_mov_b32_e32 v100, v98
	v_pk_fma_f32 v[98:99], v[38:39], s[10:11], v[96:97] op_sel_hi:[1,0,1]
	v_pk_fma_f32 v[96:97], v[38:39], s[10:11], v[96:97] op_sel_hi:[1,0,1] neg_lo:[0,0,1] neg_hi:[0,0,1]
	v_pk_add_f32 v[68:69], v[68:69], v[88:89]
	v_mov_b32_e32 v93, v95
	v_pk_add_f32 v[64:65], v[64:65], v[100:101]
	v_mov_b32_e32 v101, v97
	;; [unrolled: 2-line block ×3, first 2 shown]
	v_pk_add_f32 v[68:69], v[68:69], v[96:97]
	global_store_dwordx2 v[62:63], v[68:69], off
	v_pk_mul_f32 v[62:63], v[50:51], s[16:17] op_sel_hi:[1,0]
	v_pk_mul_f32 v[68:69], v[52:53], s[40:41] op_sel_hi:[1,0]
	v_pk_fma_f32 v[72:73], v[42:43], s[10:11], v[62:63] op_sel:[1,0,0] op_sel_hi:[0,0,1]
	v_pk_fma_f32 v[74:75], v[42:43], s[10:11], v[62:63] op_sel:[1,0,0] op_sel_hi:[0,0,1] neg_lo:[0,0,1] neg_hi:[0,0,1]
	v_mov_b32_e32 v62, v72
	v_mov_b32_e32 v63, v75
	v_pk_fma_f32 v[76:77], v[40:41], s[8:9], v[68:69] op_sel:[1,0,0] op_sel_hi:[0,0,1]
	v_pk_fma_f32 v[68:69], v[40:41], s[8:9], v[68:69] op_sel:[1,0,0] op_sel_hi:[0,0,1] neg_lo:[0,0,1] neg_hi:[0,0,1]
	v_pk_mul_f32 v[70:71], v[30:31], s[24:25] op_sel:[1,0] op_sel_hi:[0,0]
	v_pk_add_f32 v[62:63], v[0:1], v[62:63]
	v_mov_b32_e32 v78, v76
	v_mov_b32_e32 v79, v69
	v_pk_add_f32 v[62:63], v[62:63], v[78:79]
	v_pk_fma_f32 v[78:79], v[22:23], s[6:7], v[70:71] op_sel_hi:[1,0,1]
	v_pk_fma_f32 v[70:71], v[22:23], s[6:7], v[70:71] op_sel_hi:[1,0,1] neg_lo:[0,0,1] neg_hi:[0,0,1]
	v_mov_b32_e32 v80, v78
	v_mov_b32_e32 v81, v71
	v_pk_add_f32 v[62:63], v[62:63], v[80:81]
	v_pk_mul_f32 v[80:81], v[32:33], s[20:21] op_sel:[1,0] op_sel_hi:[0,0]
	v_pk_fma_f32 v[82:83], v[26:27], s[12:13], v[80:81] op_sel_hi:[1,0,1]
	v_pk_fma_f32 v[80:81], v[26:27], s[12:13], v[80:81] op_sel_hi:[1,0,1] neg_lo:[0,0,1] neg_hi:[0,0,1]
	v_mov_b32_e32 v84, v82
	v_mov_b32_e32 v85, v81
	v_pk_add_f32 v[62:63], v[62:63], v[84:85]
	v_pk_mul_f32 v[84:85], v[34:35], s[38:39] op_sel:[1,0] op_sel_hi:[0,0]
	;; [unrolled: 6-line block ×3, first 2 shown]
	v_pk_fma_f32 v[90:91], v[46:47], s[4:5], v[88:89] op_sel_hi:[1,0,1]
	v_pk_fma_f32 v[88:89], v[46:47], s[4:5], v[88:89] op_sel_hi:[1,0,1] neg_lo:[0,0,1] neg_hi:[0,0,1]
	v_mov_b32_e32 v75, v73
	v_mov_b32_e32 v92, v90
	;; [unrolled: 1-line block ×4, first 2 shown]
	v_pk_add_f32 v[72:73], v[0:1], v[74:75]
	v_pk_add_f32 v[62:63], v[62:63], v[92:93]
	v_pk_mul_f32 v[92:93], v[56:57], s[22:23] op_sel:[1,0] op_sel_hi:[0,0]
	v_pk_add_f32 v[68:69], v[72:73], v[68:69]
	v_mov_b32_e32 v71, v79
	v_pk_fma_f32 v[94:95], v[44:45], s[18:19], v[92:93] op_sel_hi:[1,0,1]
	v_pk_fma_f32 v[92:93], v[44:45], s[18:19], v[92:93] op_sel_hi:[1,0,1] neg_lo:[0,0,1] neg_hi:[0,0,1]
	v_pk_add_f32 v[68:69], v[68:69], v[70:71]
	v_mov_b32_e32 v81, v83
	v_mov_b32_e32 v96, v94
	;; [unrolled: 1-line block ×3, first 2 shown]
	v_pk_add_f32 v[68:69], v[68:69], v[80:81]
	v_mov_b32_e32 v85, v87
	v_pk_add_f32 v[62:63], v[62:63], v[96:97]
	v_pk_mul_f32 v[96:97], v[48:49], s[28:29] op_sel:[1,0] op_sel_hi:[0,0]
	v_pk_add_f32 v[68:69], v[68:69], v[84:85]
	v_mov_b32_e32 v89, v91
	v_mov_b32_e32 v100, v98
	v_pk_fma_f32 v[98:99], v[38:39], s[2:3], v[96:97] op_sel_hi:[1,0,1]
	v_pk_fma_f32 v[96:97], v[38:39], s[2:3], v[96:97] op_sel_hi:[1,0,1] neg_lo:[0,0,1] neg_hi:[0,0,1]
	v_pk_add_f32 v[68:69], v[68:69], v[88:89]
	v_mov_b32_e32 v93, v95
	v_pk_add_f32 v[66:67], v[66:67], v[100:101]
	v_mov_b32_e32 v101, v97
	;; [unrolled: 2-line block ×3, first 2 shown]
	v_pk_add_f32 v[68:69], v[68:69], v[96:97]
	global_store_dwordx2 v[54:55], v[68:69], off
	v_pk_mul_f32 v[54:55], v[50:51], s[20:21] op_sel_hi:[1,0]
	v_pk_mul_f32 v[68:69], v[52:53], s[28:29] op_sel_hi:[1,0]
	v_pk_fma_f32 v[72:73], v[42:43], s[12:13], v[54:55] op_sel:[1,0,0] op_sel_hi:[0,0,1]
	v_pk_fma_f32 v[74:75], v[42:43], s[12:13], v[54:55] op_sel:[1,0,0] op_sel_hi:[0,0,1] neg_lo:[0,0,1] neg_hi:[0,0,1]
	v_mov_b32_e32 v54, v72
	v_mov_b32_e32 v55, v75
	v_pk_fma_f32 v[76:77], v[40:41], s[2:3], v[68:69] op_sel:[1,0,0] op_sel_hi:[0,0,1]
	v_pk_fma_f32 v[68:69], v[40:41], s[2:3], v[68:69] op_sel:[1,0,0] op_sel_hi:[0,0,1] neg_lo:[0,0,1] neg_hi:[0,0,1]
	v_pk_mul_f32 v[70:71], v[30:31], s[26:27] op_sel:[1,0] op_sel_hi:[0,0]
	v_pk_add_f32 v[54:55], v[0:1], v[54:55]
	v_mov_b32_e32 v78, v76
	v_mov_b32_e32 v79, v69
	v_pk_add_f32 v[54:55], v[54:55], v[78:79]
	v_pk_fma_f32 v[78:79], v[22:23], s[0:1], v[70:71] op_sel_hi:[1,0,1]
	v_pk_fma_f32 v[70:71], v[22:23], s[0:1], v[70:71] op_sel_hi:[1,0,1] neg_lo:[0,0,1] neg_hi:[0,0,1]
	v_mov_b32_e32 v80, v78
	v_mov_b32_e32 v81, v71
	v_pk_add_f32 v[54:55], v[54:55], v[80:81]
	v_pk_mul_f32 v[80:81], v[32:33], s[42:43] op_sel:[1,0] op_sel_hi:[0,0]
	v_pk_fma_f32 v[82:83], v[26:27], s[10:11], v[80:81] op_sel_hi:[1,0,1]
	v_pk_fma_f32 v[80:81], v[26:27], s[10:11], v[80:81] op_sel_hi:[1,0,1] neg_lo:[0,0,1] neg_hi:[0,0,1]
	v_mov_b32_e32 v84, v82
	v_mov_b32_e32 v85, v81
	v_pk_add_f32 v[54:55], v[54:55], v[84:85]
	v_pk_mul_f32 v[84:85], v[34:35], s[24:25] op_sel:[1,0] op_sel_hi:[0,0]
	;; [unrolled: 6-line block ×3, first 2 shown]
	v_pk_fma_f32 v[90:91], v[46:47], s[18:19], v[88:89] op_sel_hi:[1,0,1]
	v_pk_fma_f32 v[88:89], v[46:47], s[18:19], v[88:89] op_sel_hi:[1,0,1] neg_lo:[0,0,1] neg_hi:[0,0,1]
	v_mov_b32_e32 v75, v73
	v_mov_b32_e32 v92, v90
	v_mov_b32_e32 v93, v89
	v_mov_b32_e32 v69, v77
	v_pk_add_f32 v[72:73], v[0:1], v[74:75]
	v_pk_add_f32 v[54:55], v[54:55], v[92:93]
	v_pk_mul_f32 v[92:93], v[56:57], s[36:37] op_sel:[1,0] op_sel_hi:[0,0]
	v_pk_add_f32 v[68:69], v[72:73], v[68:69]
	v_mov_b32_e32 v71, v79
	v_pk_fma_f32 v[94:95], v[44:45], s[4:5], v[92:93] op_sel_hi:[1,0,1]
	v_pk_fma_f32 v[92:93], v[44:45], s[4:5], v[92:93] op_sel_hi:[1,0,1] neg_lo:[0,0,1] neg_hi:[0,0,1]
	v_pk_add_f32 v[68:69], v[68:69], v[70:71]
	v_mov_b32_e32 v81, v83
	v_mov_b32_e32 v96, v94
	;; [unrolled: 1-line block ×3, first 2 shown]
	v_pk_add_f32 v[68:69], v[68:69], v[80:81]
	v_mov_b32_e32 v85, v87
	v_pk_add_f32 v[54:55], v[54:55], v[96:97]
	v_pk_mul_f32 v[96:97], v[48:49], s[14:15] op_sel:[1,0] op_sel_hi:[0,0]
	v_pk_add_f32 v[68:69], v[68:69], v[84:85]
	v_mov_b32_e32 v89, v91
	v_mov_b32_e32 v100, v98
	v_pk_fma_f32 v[98:99], v[38:39], s[8:9], v[96:97] op_sel_hi:[1,0,1]
	v_pk_fma_f32 v[96:97], v[38:39], s[8:9], v[96:97] op_sel_hi:[1,0,1] neg_lo:[0,0,1] neg_hi:[0,0,1]
	v_pk_add_f32 v[68:69], v[68:69], v[88:89]
	v_mov_b32_e32 v93, v95
	v_pk_add_f32 v[62:63], v[62:63], v[100:101]
	v_mov_b32_e32 v101, v97
	;; [unrolled: 2-line block ×3, first 2 shown]
	v_pk_add_f32 v[68:69], v[68:69], v[96:97]
	global_store_dwordx2 v[28:29], v[68:69], off
	v_pk_mul_f32 v[28:29], v[50:51], s[22:23] op_sel_hi:[1,0]
	v_pk_mul_f32 v[50:51], v[52:53], s[30:31] op_sel_hi:[1,0]
	v_pk_fma_f32 v[74:75], v[42:43], s[18:19], v[28:29] op_sel:[1,0,0] op_sel_hi:[0,0,1]
	v_pk_fma_f32 v[76:77], v[42:43], s[18:19], v[28:29] op_sel:[1,0,0] op_sel_hi:[0,0,1] neg_lo:[0,0,1] neg_hi:[0,0,1]
	v_mov_b32_e32 v28, v74
	v_mov_b32_e32 v29, v77
	v_pk_mul_f32 v[52:53], v[30:31], s[20:21] op_sel:[1,0] op_sel_hi:[0,0]
	v_pk_mul_f32 v[68:69], v[32:33], s[36:37] op_sel:[1,0] op_sel_hi:[0,0]
	v_pk_add_f32 v[32:33], v[0:1], v[28:29]
	v_pk_fma_f32 v[28:29], v[40:41], s[6:7], v[50:51] op_sel:[1,0,0] op_sel_hi:[0,0,1]
	v_pk_fma_f32 v[30:31], v[40:41], s[6:7], v[50:51] op_sel:[1,0,0] op_sel_hi:[0,0,1] neg_lo:[0,0,1] neg_hi:[0,0,1]
	v_pk_mul_f32 v[70:71], v[34:35], s[16:17] op_sel:[1,0] op_sel_hi:[0,0]
	v_mov_b32_e32 v34, v28
	v_mov_b32_e32 v35, v31
	v_pk_add_f32 v[34:35], v[32:33], v[34:35]
	v_pk_fma_f32 v[32:33], v[22:23], s[12:13], v[52:53] op_sel_hi:[1,0,1]
	v_pk_fma_f32 v[22:23], v[22:23], s[12:13], v[52:53] op_sel_hi:[1,0,1] neg_lo:[0,0,1] neg_hi:[0,0,1]
	v_mov_b32_e32 v40, v32
	v_mov_b32_e32 v41, v23
	v_pk_add_f32 v[40:41], v[34:35], v[40:41]
	v_pk_fma_f32 v[34:35], v[26:27], s[4:5], v[68:69] op_sel_hi:[1,0,1]
	v_pk_fma_f32 v[26:27], v[26:27], s[4:5], v[68:69] op_sel_hi:[1,0,1] neg_lo:[0,0,1] neg_hi:[0,0,1]
	;; [unrolled: 5-line block ×3, first 2 shown]
	v_mov_b32_e32 v77, v75
	v_pk_mul_f32 v[58:59], v[58:59], s[28:29] op_sel:[1,0] op_sel_hi:[0,0]
	v_pk_mul_f32 v[72:73], v[48:49], s[38:39] op_sel:[1,0] op_sel_hi:[0,0]
	v_mov_b32_e32 v48, v40
	v_mov_b32_e32 v49, v25
	v_pk_add_f32 v[0:1], v[0:1], v[76:77]
	v_mov_b32_e32 v31, v29
	v_pk_add_f32 v[48:49], v[42:43], v[48:49]
	v_pk_fma_f32 v[42:43], v[46:47], s[2:3], v[58:59] op_sel_hi:[1,0,1]
	v_pk_fma_f32 v[46:47], v[46:47], s[2:3], v[58:59] op_sel_hi:[1,0,1] neg_lo:[0,0,1] neg_hi:[0,0,1]
	v_pk_add_f32 v[0:1], v[0:1], v[30:31]
	v_mov_b32_e32 v23, v33
	v_pk_mul_f32 v[56:57], v[56:57], s[14:15] op_sel:[1,0] op_sel_hi:[0,0]
	v_mov_b32_e32 v50, v42
	v_mov_b32_e32 v51, v47
	v_pk_add_f32 v[0:1], v[0:1], v[22:23]
	v_mov_b32_e32 v27, v35
	v_pk_add_f32 v[50:51], v[48:49], v[50:51]
	v_pk_fma_f32 v[48:49], v[44:45], s[8:9], v[56:57] op_sel_hi:[1,0,1]
	v_pk_fma_f32 v[44:45], v[44:45], s[8:9], v[56:57] op_sel_hi:[1,0,1] neg_lo:[0,0,1] neg_hi:[0,0,1]
	v_pk_add_f32 v[0:1], v[0:1], v[26:27]
	v_mov_b32_e32 v25, v41
	v_mov_b32_e32 v52, v48
	;; [unrolled: 1-line block ×3, first 2 shown]
	v_pk_add_f32 v[0:1], v[0:1], v[24:25]
	v_mov_b32_e32 v47, v43
	v_pk_add_f32 v[52:53], v[50:51], v[52:53]
	v_pk_fma_f32 v[50:51], v[38:39], s[0:1], v[72:73] op_sel_hi:[1,0,1]
	v_pk_fma_f32 v[38:39], v[38:39], s[0:1], v[72:73] op_sel_hi:[1,0,1] neg_lo:[0,0,1] neg_hi:[0,0,1]
	v_pk_add_f32 v[0:1], v[0:1], v[46:47]
	v_mov_b32_e32 v45, v49
	v_mov_b32_e32 v57, v39
	v_pk_add_f32 v[0:1], v[0:1], v[44:45]
	v_mov_b32_e32 v39, v51
	v_mov_b32_e32 v100, v98
	;; [unrolled: 1-line block ×3, first 2 shown]
	v_pk_add_f32 v[0:1], v[0:1], v[38:39]
	v_pk_add_f32 v[54:55], v[54:55], v[100:101]
	;; [unrolled: 1-line block ×3, first 2 shown]
	global_store_dwordx2 v[2:3], v[0:1], off
	global_store_dwordx2 v[4:5], v[52:53], off
	;; [unrolled: 1-line block ×9, first 2 shown]
	s_endpgm
	.section	.rodata,"a",@progbits
	.p2align	6, 0x0
	.amdhsa_kernel fft_rtc_fwd_len850_factors_10_5_17_wgs_85_tpt_85_sp_ip_CI_sbrr_dirReg
		.amdhsa_group_segment_fixed_size 0
		.amdhsa_private_segment_fixed_size 0
		.amdhsa_kernarg_size 88
		.amdhsa_user_sgpr_count 2
		.amdhsa_user_sgpr_dispatch_ptr 0
		.amdhsa_user_sgpr_queue_ptr 0
		.amdhsa_user_sgpr_kernarg_segment_ptr 1
		.amdhsa_user_sgpr_dispatch_id 0
		.amdhsa_user_sgpr_kernarg_preload_length 0
		.amdhsa_user_sgpr_kernarg_preload_offset 0
		.amdhsa_user_sgpr_private_segment_size 0
		.amdhsa_uses_dynamic_stack 0
		.amdhsa_enable_private_segment 0
		.amdhsa_system_sgpr_workgroup_id_x 1
		.amdhsa_system_sgpr_workgroup_id_y 0
		.amdhsa_system_sgpr_workgroup_id_z 0
		.amdhsa_system_sgpr_workgroup_info 0
		.amdhsa_system_vgpr_workitem_id 0
		.amdhsa_next_free_vgpr 112
		.amdhsa_next_free_sgpr 46
		.amdhsa_accum_offset 112
		.amdhsa_reserve_vcc 1
		.amdhsa_float_round_mode_32 0
		.amdhsa_float_round_mode_16_64 0
		.amdhsa_float_denorm_mode_32 3
		.amdhsa_float_denorm_mode_16_64 3
		.amdhsa_dx10_clamp 1
		.amdhsa_ieee_mode 1
		.amdhsa_fp16_overflow 0
		.amdhsa_tg_split 0
		.amdhsa_exception_fp_ieee_invalid_op 0
		.amdhsa_exception_fp_denorm_src 0
		.amdhsa_exception_fp_ieee_div_zero 0
		.amdhsa_exception_fp_ieee_overflow 0
		.amdhsa_exception_fp_ieee_underflow 0
		.amdhsa_exception_fp_ieee_inexact 0
		.amdhsa_exception_int_div_zero 0
	.end_amdhsa_kernel
	.text
.Lfunc_end0:
	.size	fft_rtc_fwd_len850_factors_10_5_17_wgs_85_tpt_85_sp_ip_CI_sbrr_dirReg, .Lfunc_end0-fft_rtc_fwd_len850_factors_10_5_17_wgs_85_tpt_85_sp_ip_CI_sbrr_dirReg
                                        ; -- End function
	.section	.AMDGPU.csdata,"",@progbits
; Kernel info:
; codeLenInByte = 9376
; NumSgprs: 52
; NumVgprs: 112
; NumAgprs: 0
; TotalNumVgprs: 112
; ScratchSize: 0
; MemoryBound: 0
; FloatMode: 240
; IeeeMode: 1
; LDSByteSize: 0 bytes/workgroup (compile time only)
; SGPRBlocks: 6
; VGPRBlocks: 13
; NumSGPRsForWavesPerEU: 52
; NumVGPRsForWavesPerEU: 112
; AccumOffset: 112
; Occupancy: 4
; WaveLimiterHint : 1
; COMPUTE_PGM_RSRC2:SCRATCH_EN: 0
; COMPUTE_PGM_RSRC2:USER_SGPR: 2
; COMPUTE_PGM_RSRC2:TRAP_HANDLER: 0
; COMPUTE_PGM_RSRC2:TGID_X_EN: 1
; COMPUTE_PGM_RSRC2:TGID_Y_EN: 0
; COMPUTE_PGM_RSRC2:TGID_Z_EN: 0
; COMPUTE_PGM_RSRC2:TIDIG_COMP_CNT: 0
; COMPUTE_PGM_RSRC3_GFX90A:ACCUM_OFFSET: 27
; COMPUTE_PGM_RSRC3_GFX90A:TG_SPLIT: 0
	.text
	.p2alignl 6, 3212836864
	.fill 256, 4, 3212836864
	.type	__hip_cuid_c0b2ec25218fcad5,@object ; @__hip_cuid_c0b2ec25218fcad5
	.section	.bss,"aw",@nobits
	.globl	__hip_cuid_c0b2ec25218fcad5
__hip_cuid_c0b2ec25218fcad5:
	.byte	0                               ; 0x0
	.size	__hip_cuid_c0b2ec25218fcad5, 1

	.ident	"AMD clang version 19.0.0git (https://github.com/RadeonOpenCompute/llvm-project roc-6.4.0 25133 c7fe45cf4b819c5991fe208aaa96edf142730f1d)"
	.section	".note.GNU-stack","",@progbits
	.addrsig
	.addrsig_sym __hip_cuid_c0b2ec25218fcad5
	.amdgpu_metadata
---
amdhsa.kernels:
  - .agpr_count:     0
    .args:
      - .actual_access:  read_only
        .address_space:  global
        .offset:         0
        .size:           8
        .value_kind:     global_buffer
      - .offset:         8
        .size:           8
        .value_kind:     by_value
      - .actual_access:  read_only
        .address_space:  global
        .offset:         16
        .size:           8
        .value_kind:     global_buffer
      - .actual_access:  read_only
        .address_space:  global
        .offset:         24
        .size:           8
        .value_kind:     global_buffer
      - .offset:         32
        .size:           8
        .value_kind:     by_value
      - .actual_access:  read_only
        .address_space:  global
        .offset:         40
        .size:           8
        .value_kind:     global_buffer
      - .actual_access:  read_only
        .address_space:  global
        .offset:         48
        .size:           8
        .value_kind:     global_buffer
      - .offset:         56
        .size:           4
        .value_kind:     by_value
      - .actual_access:  read_only
        .address_space:  global
        .offset:         64
        .size:           8
        .value_kind:     global_buffer
      - .actual_access:  read_only
        .address_space:  global
        .offset:         72
        .size:           8
        .value_kind:     global_buffer
      - .address_space:  global
        .offset:         80
        .size:           8
        .value_kind:     global_buffer
    .group_segment_fixed_size: 0
    .kernarg_segment_align: 8
    .kernarg_segment_size: 88
    .language:       OpenCL C
    .language_version:
      - 2
      - 0
    .max_flat_workgroup_size: 85
    .name:           fft_rtc_fwd_len850_factors_10_5_17_wgs_85_tpt_85_sp_ip_CI_sbrr_dirReg
    .private_segment_fixed_size: 0
    .sgpr_count:     52
    .sgpr_spill_count: 0
    .symbol:         fft_rtc_fwd_len850_factors_10_5_17_wgs_85_tpt_85_sp_ip_CI_sbrr_dirReg.kd
    .uniform_work_group_size: 1
    .uses_dynamic_stack: false
    .vgpr_count:     112
    .vgpr_spill_count: 0
    .wavefront_size: 64
amdhsa.target:   amdgcn-amd-amdhsa--gfx950
amdhsa.version:
  - 1
  - 2
...

	.end_amdgpu_metadata
